;; amdgpu-corpus repo=ROCm/hipCUB kind=compiled arch=gfx1250 opt=O3
	.amdgcn_target "amdgcn-amd-amdhsa--gfx1250"
	.amdhsa_code_object_version 6
	.section	.text._Z19sort_keys_segmentedILj256ELj32ELj7ELb0EiN10test_utils7greaterEEvPT3_PKjT4_,"axG",@progbits,_Z19sort_keys_segmentedILj256ELj32ELj7ELb0EiN10test_utils7greaterEEvPT3_PKjT4_,comdat
	.protected	_Z19sort_keys_segmentedILj256ELj32ELj7ELb0EiN10test_utils7greaterEEvPT3_PKjT4_ ; -- Begin function _Z19sort_keys_segmentedILj256ELj32ELj7ELb0EiN10test_utils7greaterEEvPT3_PKjT4_
	.globl	_Z19sort_keys_segmentedILj256ELj32ELj7ELb0EiN10test_utils7greaterEEvPT3_PKjT4_
	.p2align	8
	.type	_Z19sort_keys_segmentedILj256ELj32ELj7ELb0EiN10test_utils7greaterEEvPT3_PKjT4_,@function
_Z19sort_keys_segmentedILj256ELj32ELj7ELb0EiN10test_utils7greaterEEvPT3_PKjT4_: ; @_Z19sort_keys_segmentedILj256ELj32ELj7ELb0EiN10test_utils7greaterEEvPT3_PKjT4_
; %bb.0:
	s_load_b128 s[0:3], s[0:1], 0x0
	s_bfe_u32 s4, ttmp6, 0x4000c
	s_and_b32 s5, ttmp6, 15
	s_add_co_i32 s4, s4, 1
	s_getreg_b32 s6, hwreg(HW_REG_IB_STS2, 6, 4)
	s_mul_i32 s4, ttmp9, s4
	v_dual_mov_b32 v11, 0 :: v_dual_lshrrev_b32 v14, 5, v0
	s_add_co_i32 s5, s5, s4
	s_cmp_eq_u32 s6, 0
	v_mbcnt_lo_u32_b32 v13, -1, 0
	s_cselect_b32 s4, ttmp9, s5
	v_dual_mov_b32 v3, v11 :: v_dual_mov_b32 v4, v11
	v_lshl_or_b32 v0, s4, 3, v14
	s_delay_alu instid0(VALU_DEP_3) | instskip(SKIP_2) | instid1(VALU_DEP_4)
	v_mul_u32_u24_e32 v12, 7, v13
	v_dual_mov_b32 v5, v11 :: v_dual_mov_b32 v6, v11
	v_mov_b32_e32 v1, v11
	v_mul_lo_u32 v10, 0xe0, v0
	s_wait_kmcnt 0x0
	global_load_b32 v7, v0, s[2:3] scale_offset
	s_wait_xcnt 0x0
	v_dual_mov_b32 v0, v11 :: v_dual_mov_b32 v2, v11
	v_lshl_add_u64 v[8:9], v[10:11], 2, s[0:1]
	v_lshlrev_b32_e32 v10, 2, v12
	s_delay_alu instid0(VALU_DEP_1)
	v_add_nc_u64_e32 v[8:9], v[8:9], v[10:11]
	s_wait_loadcnt 0x0
	v_cmp_lt_u32_e32 vcc_lo, v12, v7
	s_and_saveexec_b32 s0, vcc_lo
	s_cbranch_execz .LBB0_2
; %bb.1:
	global_load_b32 v0, v[8:9], off
	v_dual_mov_b32 v1, v11 :: v_dual_mov_b32 v2, v11
	v_dual_mov_b32 v3, v11 :: v_dual_mov_b32 v4, v11
	;; [unrolled: 1-line block ×3, first 2 shown]
.LBB0_2:
	s_wait_xcnt 0x0
	s_or_b32 exec_lo, exec_lo, s0
	v_add_nc_u32_e32 v11, 1, v12
	s_delay_alu instid0(VALU_DEP_1)
	v_cmp_lt_u32_e64 s0, v11, v7
	s_and_saveexec_b32 s1, s0
	s_cbranch_execz .LBB0_4
; %bb.3:
	global_load_b32 v1, v[8:9], off offset:4
.LBB0_4:
	s_wait_xcnt 0x0
	s_or_b32 exec_lo, exec_lo, s1
	v_add_nc_u32_e32 v15, 2, v12
	s_delay_alu instid0(VALU_DEP_1)
	v_cmp_lt_u32_e64 s1, v15, v7
	s_and_saveexec_b32 s2, s1
	s_cbranch_execz .LBB0_6
; %bb.5:
	global_load_b32 v2, v[8:9], off offset:8
.LBB0_6:
	;; [unrolled: 10-line block ×6, first 2 shown]
	s_wait_xcnt 0x0
	s_or_b32 exec_lo, exec_lo, s6
	v_cmp_lt_i32_e64 s6, v17, v7
	v_cmp_lt_i32_e64 s7, v19, v7
	;; [unrolled: 1-line block ×5, first 2 shown]
	s_or_b32 s6, s7, s6
	s_wait_loadcnt 0x0
	v_cndmask_b32_e64 v5, 0x80000000, v5, s7
	v_cndmask_b32_e64 v4, 0x80000000, v4, s6
	s_or_b32 s6, s6, s9
	v_cmp_lt_i32_e64 s7, v18, v7
	v_cndmask_b32_e64 v3, 0x80000000, v3, s6
	s_or_b32 s6, s6, s10
	s_brev_b32 s9, 1
	v_cndmask_b32_e64 v2, 0x80000000, v2, s6
	s_or_b32 s6, s6, s8
	s_mov_b32 s8, exec_lo
	v_cndmask_b32_e64 v1, 0x80000000, v1, s6
	v_cmpx_ge_i32_e64 v18, v7
; %bb.15:
	v_cmp_lt_i32_e64 s6, v12, v7
	v_mov_b32_e32 v6, s9
	s_and_not1_b32 s7, s7, exec_lo
	s_and_b32 s6, s6, exec_lo
	s_delay_alu instid0(SALU_CYCLE_1)
	s_or_b32 s7, s7, s6
; %bb.16:
	s_or_b32 exec_lo, exec_lo, s8
	s_and_saveexec_b32 s8, s7
	s_cbranch_execz .LBB0_20
; %bb.17:
	v_cmp_gt_i32_e64 s6, v1, v0
	v_cmp_gt_i32_e64 s7, v3, v2
	v_min_i32_e32 v16, v1, v0
	s_delay_alu instid0(VALU_DEP_3) | instskip(SKIP_4) | instid1(VALU_DEP_3)
	v_dual_cndmask_b32 v11, v0, v1, s6 :: v_dual_max_i32 v15, v1, v0
	v_cndmask_b32_e64 v0, v1, v0, s6
	v_cmp_gt_i32_e64 s6, v5, v4
	v_dual_cndmask_b32 v1, v3, v2, s7 :: v_dual_max_i32 v18, v3, v2
	v_dual_cndmask_b32 v17, v2, v3, s7 :: v_dual_min_i32 v2, v3, v2
	v_dual_cndmask_b32 v20, v4, v5, s6 :: v_dual_cndmask_b32 v3, v5, v4, s6
	s_delay_alu instid0(VALU_DEP_3) | instskip(NEXT) | instid1(VALU_DEP_1)
	v_cmp_gt_i32_e64 s7, v18, v16
	v_dual_cndmask_b32 v0, v0, v18, s7 :: v_dual_max_i32 v19, v5, v4
	s_delay_alu instid0(VALU_DEP_1) | instskip(SKIP_2) | instid1(VALU_DEP_3)
	v_cmp_gt_i32_e64 s6, v19, v2
	v_min_i32_e32 v4, v5, v4
	v_dual_cndmask_b32 v5, v17, v16, s7 :: v_dual_min_i32 v17, v18, v16
	v_dual_cndmask_b32 v1, v1, v19, s6 :: v_dual_max_i32 v16, v18, v16
	v_cndmask_b32_e64 v20, v20, v2, s6
	s_delay_alu instid0(VALU_DEP_4) | instskip(SKIP_3) | instid1(VALU_DEP_4)
	v_cmp_gt_i32_e64 s6, v6, v4
	v_min_i32_e32 v21, v19, v2
	v_cmp_gt_i32_e64 s7, v18, v15
	v_max_i32_e32 v2, v19, v2
	v_dual_cndmask_b32 v3, v3, v6, s6 :: v_dual_min_i32 v18, v6, v4
	v_dual_cndmask_b32 v19, v6, v4, s6 :: v_dual_max_i32 v4, v6, v4
	s_delay_alu instid0(VALU_DEP_4) | instskip(NEXT) | instid1(VALU_DEP_4)
	v_cndmask_b32_e64 v0, v0, v15, s7
	v_cmp_gt_i32_e64 s6, v2, v17
	v_cndmask_b32_e64 v6, v11, v16, s7
	v_dual_cndmask_b32 v11, v15, v16, s7 :: v_dual_cndmask_b32 v15, v16, v15, s7
	s_delay_alu instid0(VALU_DEP_3) | instskip(SKIP_2) | instid1(VALU_DEP_3)
	v_dual_cndmask_b32 v1, v1, v17, s6 :: v_dual_max_i32 v16, v2, v17
	v_dual_cndmask_b32 v5, v5, v2, s6 :: v_dual_min_i32 v2, v2, v17
	v_cmp_gt_i32_e64 s6, v4, v21
	v_cmp_gt_i32_e64 s7, v16, v15
	s_delay_alu instid0(VALU_DEP_2) | instskip(NEXT) | instid1(VALU_DEP_2)
	v_dual_cndmask_b32 v3, v3, v21, s6 :: v_dual_max_i32 v17, v4, v21
	v_dual_cndmask_b32 v20, v20, v4, s6 :: v_dual_cndmask_b32 v5, v5, v15, s7
	s_delay_alu instid0(VALU_DEP_2) | instskip(SKIP_3) | instid1(VALU_DEP_2)
	v_cmp_gt_i32_e64 s6, v17, v2
	v_cndmask_b32_e64 v0, v0, v16, s7
	v_cmp_lt_i32_e64 s7, v21, v18
	v_min_i32_e32 v4, v4, v21
	v_dual_cndmask_b32 v1, v1, v17, s6 :: v_dual_cndmask_b32 v3, v3, v18, s7
	v_min_i32_e32 v22, v16, v15
	v_max_i32_e32 v15, v16, v15
	v_dual_cndmask_b32 v16, v20, v2, s6 :: v_dual_min_i32 v20, v17, v2
	v_dual_cndmask_b32 v17, v19, v4, s7 :: v_dual_max_i32 v2, v17, v2
	v_cndmask_b32_e64 v19, v18, v4, s7
	s_delay_alu instid0(VALU_DEP_4) | instskip(SKIP_1) | instid1(VALU_DEP_2)
	v_cmp_gt_i32_e64 s6, v15, v11
	v_dual_cndmask_b32 v4, v4, v18, s7 :: v_dual_max_i32 v21, v15, v11
	v_cndmask_b32_e64 v18, v6, v15, s6
	v_cmp_gt_i32_e64 s7, v2, v22
	v_dual_cndmask_b32 v0, v0, v11, s6 :: v_dual_min_i32 v6, v15, v11
	v_max_i32_e32 v15, v2, v22
	v_cmp_gt_i32_e64 s6, v4, v20
	s_delay_alu instid0(VALU_DEP_4)
	v_cndmask_b32_e64 v1, v1, v22, s7
	v_cndmask_b32_e64 v5, v5, v2, s7
	v_min_i32_e32 v2, v2, v22
	v_cmp_gt_i32_e64 s7, v15, v6
	v_dual_cndmask_b32 v3, v3, v20, s6 :: v_dual_max_i32 v11, v4, v20
	v_dual_cndmask_b32 v16, v16, v4, s6 :: v_dual_min_i32 v24, v15, v6
	s_delay_alu instid0(VALU_DEP_3) | instskip(NEXT) | instid1(VALU_DEP_3)
	v_dual_cndmask_b32 v23, v0, v15, s7 :: v_dual_cndmask_b32 v22, v5, v6, s7
	v_cmp_gt_i32_e64 s6, v11, v2
	v_min_i32_e32 v20, v4, v20
	v_max_i32_e32 v25, v11, v2
	v_cmp_gt_i32_e64 s7, v15, v21
	s_delay_alu instid0(VALU_DEP_4) | instskip(NEXT) | instid1(VALU_DEP_4)
	v_dual_cndmask_b32 v4, v16, v2, s6 :: v_dual_cndmask_b32 v16, v1, v11, s6
	v_cmp_gt_i32_e64 s6, v19, v20
	v_max_i32_e32 v0, v15, v6
	s_delay_alu instid0(VALU_DEP_2) | instskip(SKIP_2) | instid1(VALU_DEP_4)
	v_dual_cndmask_b32 v1, v23, v21, s7 :: v_dual_cndmask_b32 v6, v17, v20, s6
	v_cndmask_b32_e64 v5, v3, v19, s6
	v_cmp_gt_i32_e64 s6, v25, v24
	v_dual_cndmask_b32 v0, v18, v0, s7 :: v_dual_min_i32 v11, v11, v2
	v_max_i32_e32 v15, v19, v20
	s_mov_b32 s7, exec_lo
	v_dual_cndmask_b32 v3, v16, v24, s6 :: v_dual_cndmask_b32 v2, v22, v25, s6
	s_delay_alu instid0(VALU_DEP_2)
	v_cmpx_gt_i32_e64 v15, v11
; %bb.18:
	v_dual_mov_b32 v4, v15 :: v_dual_mov_b32 v5, v11
; %bb.19:
	s_or_b32 exec_lo, exec_lo, s7
.LBB0_20:
	s_delay_alu instid0(SALU_CYCLE_1) | instskip(SKIP_3) | instid1(VALU_DEP_1)
	s_or_b32 exec_lo, exec_lo, s8
	v_and_b32_e32 v11, 30, v13
	s_mov_b32 s8, 0
	s_mov_b32 s7, exec_lo
	; wave barrier
	v_mul_u32_u24_e32 v11, 7, v11
	s_delay_alu instid0(VALU_DEP_1) | instskip(NEXT) | instid1(VALU_DEP_1)
	v_min_i32_e32 v17, v7, v11
	v_add_min_i32_e64 v15, v17, 7, v7
	s_delay_alu instid0(VALU_DEP_1) | instskip(NEXT) | instid1(VALU_DEP_1)
	v_add_min_i32_e64 v16, v15, 7, v7
	v_dual_sub_nc_u32 v19, v16, v15 :: v_dual_bitop2_b32 v11, 1, v13 bitop3:0x40
	s_delay_alu instid0(VALU_DEP_1) | instskip(NEXT) | instid1(VALU_DEP_1)
	v_cmp_eq_u32_e64 s6, 1, v11
	v_cndmask_b32_e64 v11, 0, 7, s6
	s_delay_alu instid0(VALU_DEP_1)
	v_min_i32_e32 v18, v7, v11
	v_mad_u32_u24 v11, 0x384, v14, v10
	ds_store_2addr_b32 v11, v0, v1 offset1:1
	ds_store_2addr_b32 v11, v2, v3 offset0:2 offset1:3
	ds_store_2addr_b32 v11, v4, v5 offset0:4 offset1:5
	ds_store_b32 v11, v6 offset:24
	v_sub_nc_u32_e32 v20, v18, v19
	v_cmp_ge_i32_e64 s6, v18, v19
	; wave barrier
	s_delay_alu instid0(VALU_DEP_1) | instskip(NEXT) | instid1(VALU_DEP_1)
	v_dual_cndmask_b32 v19, 0, v20, s6 :: v_dual_sub_nc_u32 v10, v15, v17
	v_dual_lshlrev_b32 v22, 2, v17 :: v_dual_min_i32 v21, v18, v10
	s_delay_alu instid0(VALU_DEP_1) | instskip(SKIP_1) | instid1(VALU_DEP_3)
	v_mad_u32_u24 v20, 0x384, v14, v22
	v_mul_u32_u24_e32 v10, 0x384, v14
	v_cmpx_lt_i32_e64 v19, v21
	s_cbranch_execz .LBB0_24
; %bb.21:
	v_dual_lshlrev_b32 v0, 2, v15 :: v_dual_lshlrev_b32 v1, 2, v18
	s_delay_alu instid0(VALU_DEP_1)
	v_add3_u32 v0, v10, v0, v1
.LBB0_22:                               ; =>This Inner Loop Header: Depth=1
	v_sub_nc_u32_e32 v1, v21, v19
	s_delay_alu instid0(VALU_DEP_1) | instskip(NEXT) | instid1(VALU_DEP_1)
	v_lshrrev_b32_e32 v1, 1, v1
	v_add_nc_u32_e32 v1, v1, v19
	s_delay_alu instid0(VALU_DEP_1) | instskip(SKIP_1) | instid1(VALU_DEP_2)
	v_not_b32_e32 v2, v1
	v_lshl_add_u32 v3, v1, 2, v20
	v_lshl_add_u32 v2, v2, 2, v0
	ds_load_b32 v3, v3
	ds_load_b32 v2, v2
	s_wait_dscnt 0x0
	v_cmp_gt_i32_e64 s6, v2, v3
	s_delay_alu instid0(VALU_DEP_1) | instskip(NEXT) | instid1(VALU_DEP_1)
	v_dual_add_nc_u32 v4, 1, v1 :: v_dual_cndmask_b32 v21, v21, v1, s6
	v_cndmask_b32_e64 v19, v4, v19, s6
	s_delay_alu instid0(VALU_DEP_1) | instskip(SKIP_1) | instid1(SALU_CYCLE_1)
	v_cmp_ge_i32_e64 s6, v19, v21
	s_or_b32 s8, s6, s8
	s_and_not1_b32 exec_lo, exec_lo, s8
	s_cbranch_execnz .LBB0_22
; %bb.23:
	s_or_b32 exec_lo, exec_lo, s8
.LBB0_24:
	s_delay_alu instid0(SALU_CYCLE_1) | instskip(SKIP_2) | instid1(VALU_DEP_2)
	s_or_b32 exec_lo, exec_lo, s7
	v_add_nc_u32_e32 v0, v15, v18
	v_lshl_add_u32 v4, v19, 2, v20
                                        ; implicit-def: $vgpr2
	v_dual_add_nc_u32 v5, v19, v17 :: v_dual_sub_nc_u32 v0, v0, v19
	s_delay_alu instid0(VALU_DEP_1) | instskip(NEXT) | instid1(VALU_DEP_2)
	v_cmp_le_i32_e64 s6, v15, v5
	v_lshl_add_u32 v6, v0, 2, v10
	v_cmp_gt_i32_e64 s8, v16, v0
	ds_load_b32 v1, v4
	ds_load_b32 v3, v6
	s_wait_dscnt 0x0
	v_cmp_gt_i32_e64 s7, v3, v1
	s_or_b32 s6, s6, s7
	s_delay_alu instid0(SALU_CYCLE_1) | instskip(NEXT) | instid1(SALU_CYCLE_1)
	s_and_b32 s6, s8, s6
	s_xor_b32 s7, s6, -1
	s_delay_alu instid0(SALU_CYCLE_1) | instskip(NEXT) | instid1(SALU_CYCLE_1)
	s_and_saveexec_b32 s8, s7
	s_xor_b32 s7, exec_lo, s8
; %bb.25:
	ds_load_b32 v2, v4 offset:4
                                        ; implicit-def: $vgpr6
; %bb.26:
	s_or_saveexec_b32 s7, s7
	v_mov_b32_e32 v4, v3
	s_xor_b32 exec_lo, exec_lo, s7
	s_cbranch_execz .LBB0_28
; %bb.27:
	ds_load_b32 v4, v6 offset:4
	s_wait_dscnt 0x1
	v_mov_b32_e32 v2, v1
.LBB0_28:
	s_or_b32 exec_lo, exec_lo, s7
	v_dual_add_nc_u32 v6, 1, v5 :: v_dual_add_nc_u32 v17, 1, v0
	s_wait_dscnt 0x0
	s_delay_alu instid0(VALU_DEP_2) | instskip(NEXT) | instid1(VALU_DEP_2)
	v_cmp_gt_i32_e64 s8, v4, v2
	v_cndmask_b32_e64 v14, v6, v5, s6
	s_delay_alu instid0(VALU_DEP_3) | instskip(NEXT) | instid1(VALU_DEP_2)
	v_cndmask_b32_e64 v0, v0, v17, s6
                                        ; implicit-def: $vgpr5
	v_cmp_ge_i32_e64 s7, v14, v15
	s_delay_alu instid0(VALU_DEP_2) | instskip(SKIP_1) | instid1(SALU_CYCLE_1)
	v_cmp_lt_i32_e64 s9, v0, v16
	s_or_b32 s7, s7, s8
	s_and_b32 s7, s9, s7
	s_delay_alu instid0(SALU_CYCLE_1) | instskip(NEXT) | instid1(SALU_CYCLE_1)
	s_xor_b32 s8, s7, -1
	s_and_saveexec_b32 s9, s8
	s_delay_alu instid0(SALU_CYCLE_1)
	s_xor_b32 s8, exec_lo, s9
; %bb.29:
	v_lshl_add_u32 v5, v14, 2, v10
	ds_load_b32 v5, v5 offset:4
; %bb.30:
	s_or_saveexec_b32 s8, s8
	v_mov_b32_e32 v6, v4
	s_xor_b32 exec_lo, exec_lo, s8
	s_cbranch_execz .LBB0_32
; %bb.31:
	s_wait_dscnt 0x0
	v_lshl_add_u32 v5, v0, 2, v10
	ds_load_b32 v6, v5 offset:4
	v_mov_b32_e32 v5, v2
.LBB0_32:
	s_or_b32 exec_lo, exec_lo, s8
	v_dual_add_nc_u32 v17, 1, v14 :: v_dual_add_nc_u32 v19, 1, v0
	s_wait_dscnt 0x0
	s_delay_alu instid0(VALU_DEP_2) | instskip(NEXT) | instid1(VALU_DEP_2)
	v_cmp_gt_i32_e64 s9, v6, v5
	v_dual_cndmask_b32 v18, v17, v14, s7 :: v_dual_cndmask_b32 v0, v0, v19, s7
                                        ; implicit-def: $vgpr14
	s_delay_alu instid0(VALU_DEP_1) | instskip(NEXT) | instid1(VALU_DEP_2)
	v_cmp_ge_i32_e64 s8, v18, v15
	v_cmp_lt_i32_e64 s10, v0, v16
	s_or_b32 s8, s8, s9
	s_delay_alu instid0(SALU_CYCLE_1) | instskip(NEXT) | instid1(SALU_CYCLE_1)
	s_and_b32 s8, s10, s8
	s_xor_b32 s9, s8, -1
	s_delay_alu instid0(SALU_CYCLE_1) | instskip(NEXT) | instid1(SALU_CYCLE_1)
	s_and_saveexec_b32 s10, s9
	s_xor_b32 s9, exec_lo, s10
; %bb.33:
	v_lshl_add_u32 v14, v18, 2, v10
	ds_load_b32 v14, v14 offset:4
; %bb.34:
	s_or_saveexec_b32 s9, s9
	v_mov_b32_e32 v17, v6
	s_xor_b32 exec_lo, exec_lo, s9
	s_cbranch_execz .LBB0_36
; %bb.35:
	s_wait_dscnt 0x0
	v_lshl_add_u32 v14, v0, 2, v10
	ds_load_b32 v17, v14 offset:4
	v_mov_b32_e32 v14, v5
.LBB0_36:
	s_or_b32 exec_lo, exec_lo, s9
	v_dual_add_nc_u32 v19, 1, v18 :: v_dual_add_nc_u32 v21, 1, v0
	s_wait_dscnt 0x0
	s_delay_alu instid0(VALU_DEP_2) | instskip(NEXT) | instid1(VALU_DEP_2)
	v_cmp_gt_i32_e64 s10, v17, v14
	v_dual_cndmask_b32 v20, v19, v18, s8 :: v_dual_cndmask_b32 v19, v0, v21, s8
                                        ; implicit-def: $vgpr0
	s_delay_alu instid0(VALU_DEP_1) | instskip(NEXT) | instid1(VALU_DEP_2)
	v_cmp_ge_i32_e64 s9, v20, v15
	v_cmp_lt_i32_e64 s11, v19, v16
	s_or_b32 s9, s9, s10
	s_delay_alu instid0(SALU_CYCLE_1) | instskip(NEXT) | instid1(SALU_CYCLE_1)
	s_and_b32 s9, s11, s9
	s_xor_b32 s10, s9, -1
	s_delay_alu instid0(SALU_CYCLE_1) | instskip(NEXT) | instid1(SALU_CYCLE_1)
	s_and_saveexec_b32 s11, s10
	s_xor_b32 s10, exec_lo, s11
; %bb.37:
	v_lshl_add_u32 v0, v20, 2, v10
	ds_load_b32 v0, v0 offset:4
; %bb.38:
	s_or_saveexec_b32 s10, s10
	v_mov_b32_e32 v18, v17
	s_xor_b32 exec_lo, exec_lo, s10
	s_cbranch_execz .LBB0_40
; %bb.39:
	s_wait_dscnt 0x0
	v_lshl_add_u32 v0, v19, 2, v10
	ds_load_b32 v18, v0 offset:4
	v_mov_b32_e32 v0, v14
.LBB0_40:
	s_or_b32 exec_lo, exec_lo, s10
	v_dual_add_nc_u32 v21, 1, v20 :: v_dual_add_nc_u32 v22, 1, v19
	s_wait_dscnt 0x0
	s_delay_alu instid0(VALU_DEP_2) | instskip(NEXT) | instid1(VALU_DEP_2)
	v_cmp_gt_i32_e64 s11, v18, v0
	v_dual_cndmask_b32 v21, v21, v20, s9 :: v_dual_cndmask_b32 v20, v19, v22, s9
                                        ; implicit-def: $vgpr19
	s_delay_alu instid0(VALU_DEP_1) | instskip(NEXT) | instid1(VALU_DEP_2)
	v_cmp_ge_i32_e64 s10, v21, v15
	v_cmp_lt_i32_e64 s12, v20, v16
	s_or_b32 s10, s10, s11
	s_delay_alu instid0(SALU_CYCLE_1) | instskip(NEXT) | instid1(SALU_CYCLE_1)
	s_and_b32 s10, s12, s10
	s_xor_b32 s11, s10, -1
	s_delay_alu instid0(SALU_CYCLE_1) | instskip(NEXT) | instid1(SALU_CYCLE_1)
	s_and_saveexec_b32 s12, s11
	s_xor_b32 s11, exec_lo, s12
; %bb.41:
	v_lshl_add_u32 v19, v21, 2, v10
	ds_load_b32 v19, v19 offset:4
; %bb.42:
	s_or_saveexec_b32 s11, s11
	v_mov_b32_e32 v23, v18
	s_xor_b32 exec_lo, exec_lo, s11
	s_cbranch_execz .LBB0_44
; %bb.43:
	s_wait_dscnt 0x0
	v_lshl_add_u32 v19, v20, 2, v10
	ds_load_b32 v23, v19 offset:4
	v_mov_b32_e32 v19, v0
.LBB0_44:
	s_or_b32 exec_lo, exec_lo, s11
	v_dual_add_nc_u32 v22, 1, v21 :: v_dual_add_nc_u32 v24, 1, v20
	s_wait_dscnt 0x0
	s_delay_alu instid0(VALU_DEP_2) | instskip(NEXT) | instid1(VALU_DEP_2)
	v_cmp_gt_i32_e64 s12, v23, v19
	v_dual_cndmask_b32 v22, v22, v21, s10 :: v_dual_cndmask_b32 v21, v20, v24, s10
                                        ; implicit-def: $vgpr20
	s_delay_alu instid0(VALU_DEP_1) | instskip(NEXT) | instid1(VALU_DEP_2)
	v_cmp_ge_i32_e64 s11, v22, v15
	v_cmp_lt_i32_e64 s13, v21, v16
	s_or_b32 s11, s11, s12
	s_delay_alu instid0(SALU_CYCLE_1) | instskip(NEXT) | instid1(SALU_CYCLE_1)
	s_and_b32 s11, s13, s11
	s_xor_b32 s12, s11, -1
	s_delay_alu instid0(SALU_CYCLE_1) | instskip(NEXT) | instid1(SALU_CYCLE_1)
	s_and_saveexec_b32 s13, s12
	s_xor_b32 s12, exec_lo, s13
; %bb.45:
	v_lshl_add_u32 v20, v22, 2, v10
	ds_load_b32 v20, v20 offset:4
; %bb.46:
	s_or_saveexec_b32 s12, s12
	v_mov_b32_e32 v24, v23
	s_xor_b32 exec_lo, exec_lo, s12
	s_cbranch_execz .LBB0_48
; %bb.47:
	s_wait_dscnt 0x0
	v_lshl_add_u32 v20, v21, 2, v10
	ds_load_b32 v24, v20 offset:4
	v_mov_b32_e32 v20, v19
.LBB0_48:
	s_or_b32 exec_lo, exec_lo, s12
	v_dual_cndmask_b32 v23, v19, v23, s11 :: v_dual_bitop2_b32 v25, 28, v13 bitop3:0x40
	v_dual_cndmask_b32 v6, v5, v6, s8 :: v_dual_bitop2_b32 v27, 3, v13 bitop3:0x40
	v_cndmask_b32_e64 v14, v14, v17, s9
	s_delay_alu instid0(VALU_DEP_3) | instskip(SKIP_1) | instid1(VALU_DEP_4)
	v_mul_u32_u24_e32 v25, 7, v25
	v_cndmask_b32_e64 v17, v2, v4, s7
	v_mul_u32_u24_e32 v4, 7, v27
	v_cndmask_b32_e64 v27, v1, v3, s6
	s_wait_dscnt 0x0
	v_cmp_gt_i32_e64 s6, v24, v20
	v_dual_add_nc_u32 v26, 1, v22 :: v_dual_min_i32 v19, v7, v25
	v_dual_add_nc_u32 v25, 1, v21 :: v_dual_cndmask_b32 v18, v0, v18, s10
	v_min_i32_e32 v1, v7, v4
	s_delay_alu instid0(VALU_DEP_3) | instskip(NEXT) | instid1(VALU_DEP_4)
	v_add_min_i32_e64 v0, v19, 14, v7
	v_cndmask_b32_e64 v4, v26, v22, s11
	; wave barrier
	s_delay_alu instid0(VALU_DEP_4) | instskip(NEXT) | instid1(VALU_DEP_3)
	v_cndmask_b32_e64 v5, v21, v25, s11
	v_add_min_i32_e64 v2, v0, 14, v7
	v_sub_nc_u32_e32 v21, v0, v19
	s_delay_alu instid0(VALU_DEP_4) | instskip(SKIP_2) | instid1(VALU_DEP_4)
	v_cmp_ge_i32_e64 s7, v4, v15
	v_lshl_add_u32 v4, v19, 2, v10
	v_cmp_lt_i32_e64 s8, v5, v16
	v_dual_sub_nc_u32 v3, v2, v0 :: v_dual_min_i32 v5, v1, v21
	s_or_b32 s6, s7, s6
	s_mov_b32 s7, exec_lo
	s_and_b32 s6, s8, s6
	s_delay_alu instid0(VALU_DEP_1)
	v_sub_nc_u32_e32 v22, v1, v3
	v_cmp_ge_i32_e64 s9, v1, v3
	s_mov_b32 s8, 0
	v_cndmask_b32_e64 v15, v20, v24, s6
	ds_store_2addr_b32 v11, v27, v17 offset1:1
	ds_store_2addr_b32 v11, v6, v14 offset0:2 offset1:3
	ds_store_2addr_b32 v11, v18, v23 offset0:4 offset1:5
	ds_store_b32 v11, v15 offset:24
	v_cndmask_b32_e64 v3, 0, v22, s9
	; wave barrier
	s_delay_alu instid0(VALU_DEP_1)
	v_cmpx_lt_i32_e64 v3, v5
	s_cbranch_execz .LBB0_52
; %bb.49:
	v_dual_lshlrev_b32 v6, 2, v0 :: v_dual_lshlrev_b32 v14, 2, v1
	s_delay_alu instid0(VALU_DEP_1)
	v_add3_u32 v6, v10, v6, v14
.LBB0_50:                               ; =>This Inner Loop Header: Depth=1
	v_sub_nc_u32_e32 v14, v5, v3
	s_delay_alu instid0(VALU_DEP_1) | instskip(NEXT) | instid1(VALU_DEP_1)
	v_lshrrev_b32_e32 v14, 1, v14
	v_add_nc_u32_e32 v14, v14, v3
	s_delay_alu instid0(VALU_DEP_1) | instskip(SKIP_1) | instid1(VALU_DEP_2)
	v_not_b32_e32 v15, v14
	v_lshl_add_u32 v16, v14, 2, v4
	v_lshl_add_u32 v15, v15, 2, v6
	ds_load_b32 v16, v16
	ds_load_b32 v15, v15
	s_wait_dscnt 0x0
	v_cmp_gt_i32_e64 s6, v15, v16
	s_delay_alu instid0(VALU_DEP_1) | instskip(NEXT) | instid1(VALU_DEP_1)
	v_dual_add_nc_u32 v17, 1, v14 :: v_dual_cndmask_b32 v5, v5, v14, s6
	v_cndmask_b32_e64 v3, v17, v3, s6
	s_delay_alu instid0(VALU_DEP_1) | instskip(SKIP_1) | instid1(SALU_CYCLE_1)
	v_cmp_ge_i32_e64 s6, v3, v5
	s_or_b32 s8, s6, s8
	s_and_not1_b32 exec_lo, exec_lo, s8
	s_cbranch_execnz .LBB0_50
; %bb.51:
	s_or_b32 exec_lo, exec_lo, s8
.LBB0_52:
	s_delay_alu instid0(SALU_CYCLE_1) | instskip(SKIP_2) | instid1(VALU_DEP_2)
	s_or_b32 exec_lo, exec_lo, s7
	v_dual_add_nc_u32 v1, v0, v1 :: v_dual_add_nc_u32 v14, v3, v19
	v_lshl_add_u32 v6, v3, 2, v4
	v_sub_nc_u32_e32 v1, v1, v3
	s_delay_alu instid0(VALU_DEP_3) | instskip(NEXT) | instid1(VALU_DEP_2)
	v_cmp_le_i32_e64 s6, v0, v14
                                        ; implicit-def: $vgpr3
	v_lshl_add_u32 v15, v1, 2, v10
	v_cmp_gt_i32_e64 s8, v2, v1
	ds_load_b32 v4, v6
	ds_load_b32 v5, v15
	s_wait_dscnt 0x0
	v_cmp_gt_i32_e64 s7, v5, v4
	s_or_b32 s6, s6, s7
	s_delay_alu instid0(SALU_CYCLE_1) | instskip(NEXT) | instid1(SALU_CYCLE_1)
	s_and_b32 s6, s8, s6
	s_xor_b32 s7, s6, -1
	s_delay_alu instid0(SALU_CYCLE_1) | instskip(NEXT) | instid1(SALU_CYCLE_1)
	s_and_saveexec_b32 s8, s7
	s_xor_b32 s7, exec_lo, s8
; %bb.53:
	ds_load_b32 v3, v6 offset:4
                                        ; implicit-def: $vgpr15
; %bb.54:
	s_or_saveexec_b32 s7, s7
	v_mov_b32_e32 v6, v5
	s_xor_b32 exec_lo, exec_lo, s7
	s_cbranch_execz .LBB0_56
; %bb.55:
	ds_load_b32 v6, v15 offset:4
	s_wait_dscnt 0x1
	v_mov_b32_e32 v3, v4
.LBB0_56:
	s_or_b32 exec_lo, exec_lo, s7
	v_dual_add_nc_u32 v15, 1, v14 :: v_dual_add_nc_u32 v17, 1, v1
	s_wait_dscnt 0x0
	s_delay_alu instid0(VALU_DEP_2) | instskip(NEXT) | instid1(VALU_DEP_2)
	v_cmp_gt_i32_e64 s8, v6, v3
	v_dual_cndmask_b32 v16, v15, v14, s6 :: v_dual_cndmask_b32 v1, v1, v17, s6
                                        ; implicit-def: $vgpr14
	s_delay_alu instid0(VALU_DEP_1) | instskip(NEXT) | instid1(VALU_DEP_2)
	v_cmp_ge_i32_e64 s7, v16, v0
	v_cmp_lt_i32_e64 s9, v1, v2
	s_or_b32 s7, s7, s8
	s_delay_alu instid0(SALU_CYCLE_1) | instskip(NEXT) | instid1(SALU_CYCLE_1)
	s_and_b32 s7, s9, s7
	s_xor_b32 s8, s7, -1
	s_delay_alu instid0(SALU_CYCLE_1) | instskip(NEXT) | instid1(SALU_CYCLE_1)
	s_and_saveexec_b32 s9, s8
	s_xor_b32 s8, exec_lo, s9
; %bb.57:
	v_lshl_add_u32 v14, v16, 2, v10
	ds_load_b32 v14, v14 offset:4
; %bb.58:
	s_or_saveexec_b32 s8, s8
	v_mov_b32_e32 v15, v6
	s_xor_b32 exec_lo, exec_lo, s8
	s_cbranch_execz .LBB0_60
; %bb.59:
	s_wait_dscnt 0x0
	v_lshl_add_u32 v14, v1, 2, v10
	ds_load_b32 v15, v14 offset:4
	v_mov_b32_e32 v14, v3
.LBB0_60:
	s_or_b32 exec_lo, exec_lo, s8
	v_dual_add_nc_u32 v17, 1, v16 :: v_dual_add_nc_u32 v19, 1, v1
	s_wait_dscnt 0x0
	s_delay_alu instid0(VALU_DEP_2) | instskip(NEXT) | instid1(VALU_DEP_2)
	v_cmp_gt_i32_e64 s9, v15, v14
	v_cndmask_b32_e64 v18, v17, v16, s7
	s_delay_alu instid0(VALU_DEP_3) | instskip(NEXT) | instid1(VALU_DEP_2)
	v_cndmask_b32_e64 v1, v1, v19, s7
                                        ; implicit-def: $vgpr16
	v_cmp_ge_i32_e64 s8, v18, v0
	s_delay_alu instid0(VALU_DEP_2) | instskip(SKIP_1) | instid1(SALU_CYCLE_1)
	v_cmp_lt_i32_e64 s10, v1, v2
	s_or_b32 s8, s8, s9
	s_and_b32 s8, s10, s8
	s_delay_alu instid0(SALU_CYCLE_1) | instskip(NEXT) | instid1(SALU_CYCLE_1)
	s_xor_b32 s9, s8, -1
	s_and_saveexec_b32 s10, s9
	s_delay_alu instid0(SALU_CYCLE_1)
	s_xor_b32 s9, exec_lo, s10
; %bb.61:
	v_lshl_add_u32 v16, v18, 2, v10
	ds_load_b32 v16, v16 offset:4
; %bb.62:
	s_or_saveexec_b32 s9, s9
	v_mov_b32_e32 v17, v15
	s_xor_b32 exec_lo, exec_lo, s9
	s_cbranch_execz .LBB0_64
; %bb.63:
	s_wait_dscnt 0x0
	v_lshl_add_u32 v16, v1, 2, v10
	ds_load_b32 v17, v16 offset:4
	v_mov_b32_e32 v16, v14
.LBB0_64:
	s_or_b32 exec_lo, exec_lo, s9
	v_dual_add_nc_u32 v19, 1, v18 :: v_dual_add_nc_u32 v21, 1, v1
	s_wait_dscnt 0x0
	s_delay_alu instid0(VALU_DEP_2) | instskip(NEXT) | instid1(VALU_DEP_2)
	v_cmp_gt_i32_e64 s10, v17, v16
	v_dual_cndmask_b32 v20, v19, v18, s8 :: v_dual_cndmask_b32 v19, v1, v21, s8
                                        ; implicit-def: $vgpr1
	s_delay_alu instid0(VALU_DEP_1) | instskip(NEXT) | instid1(VALU_DEP_2)
	v_cmp_ge_i32_e64 s9, v20, v0
	v_cmp_lt_i32_e64 s11, v19, v2
	s_or_b32 s9, s9, s10
	s_delay_alu instid0(SALU_CYCLE_1) | instskip(NEXT) | instid1(SALU_CYCLE_1)
	s_and_b32 s9, s11, s9
	s_xor_b32 s10, s9, -1
	s_delay_alu instid0(SALU_CYCLE_1) | instskip(NEXT) | instid1(SALU_CYCLE_1)
	s_and_saveexec_b32 s11, s10
	s_xor_b32 s10, exec_lo, s11
; %bb.65:
	v_lshl_add_u32 v1, v20, 2, v10
	ds_load_b32 v1, v1 offset:4
; %bb.66:
	s_or_saveexec_b32 s10, s10
	v_mov_b32_e32 v18, v17
	s_xor_b32 exec_lo, exec_lo, s10
	s_cbranch_execz .LBB0_68
; %bb.67:
	s_wait_dscnt 0x0
	v_lshl_add_u32 v1, v19, 2, v10
	ds_load_b32 v18, v1 offset:4
	v_mov_b32_e32 v1, v16
.LBB0_68:
	s_or_b32 exec_lo, exec_lo, s10
	v_dual_add_nc_u32 v21, 1, v20 :: v_dual_add_nc_u32 v22, 1, v19
	s_wait_dscnt 0x0
	s_delay_alu instid0(VALU_DEP_2) | instskip(NEXT) | instid1(VALU_DEP_2)
	v_cmp_gt_i32_e64 s11, v18, v1
	v_dual_cndmask_b32 v21, v21, v20, s9 :: v_dual_cndmask_b32 v20, v19, v22, s9
                                        ; implicit-def: $vgpr19
	s_delay_alu instid0(VALU_DEP_1) | instskip(NEXT) | instid1(VALU_DEP_2)
	v_cmp_ge_i32_e64 s10, v21, v0
	v_cmp_lt_i32_e64 s12, v20, v2
	s_or_b32 s10, s10, s11
	s_delay_alu instid0(SALU_CYCLE_1) | instskip(NEXT) | instid1(SALU_CYCLE_1)
	s_and_b32 s10, s12, s10
	s_xor_b32 s11, s10, -1
	s_delay_alu instid0(SALU_CYCLE_1) | instskip(NEXT) | instid1(SALU_CYCLE_1)
	s_and_saveexec_b32 s12, s11
	s_xor_b32 s11, exec_lo, s12
; %bb.69:
	v_lshl_add_u32 v19, v21, 2, v10
	ds_load_b32 v19, v19 offset:4
; %bb.70:
	s_or_saveexec_b32 s11, s11
	v_mov_b32_e32 v23, v18
	s_xor_b32 exec_lo, exec_lo, s11
	s_cbranch_execz .LBB0_72
; %bb.71:
	s_wait_dscnt 0x0
	v_lshl_add_u32 v19, v20, 2, v10
	ds_load_b32 v23, v19 offset:4
	v_mov_b32_e32 v19, v1
.LBB0_72:
	s_or_b32 exec_lo, exec_lo, s11
	v_dual_add_nc_u32 v22, 1, v21 :: v_dual_add_nc_u32 v24, 1, v20
	s_wait_dscnt 0x0
	s_delay_alu instid0(VALU_DEP_2) | instskip(NEXT) | instid1(VALU_DEP_2)
	v_cmp_gt_i32_e64 s12, v23, v19
	v_dual_cndmask_b32 v22, v22, v21, s10 :: v_dual_cndmask_b32 v21, v20, v24, s10
                                        ; implicit-def: $vgpr20
	s_delay_alu instid0(VALU_DEP_1) | instskip(NEXT) | instid1(VALU_DEP_2)
	v_cmp_ge_i32_e64 s11, v22, v0
	v_cmp_lt_i32_e64 s13, v21, v2
	s_or_b32 s11, s11, s12
	s_delay_alu instid0(SALU_CYCLE_1) | instskip(NEXT) | instid1(SALU_CYCLE_1)
	s_and_b32 s11, s13, s11
	s_xor_b32 s12, s11, -1
	s_delay_alu instid0(SALU_CYCLE_1) | instskip(NEXT) | instid1(SALU_CYCLE_1)
	s_and_saveexec_b32 s13, s12
	s_xor_b32 s12, exec_lo, s13
; %bb.73:
	v_lshl_add_u32 v20, v22, 2, v10
	ds_load_b32 v20, v20 offset:4
; %bb.74:
	s_or_saveexec_b32 s12, s12
	v_mov_b32_e32 v24, v23
	s_xor_b32 exec_lo, exec_lo, s12
	s_cbranch_execz .LBB0_76
; %bb.75:
	s_wait_dscnt 0x0
	v_lshl_add_u32 v20, v21, 2, v10
	ds_load_b32 v24, v20 offset:4
	v_mov_b32_e32 v20, v19
.LBB0_76:
	s_or_b32 exec_lo, exec_lo, s12
	v_dual_cndmask_b32 v23, v19, v23, s11 :: v_dual_bitop2_b32 v25, 24, v13 bitop3:0x40
	v_dual_cndmask_b32 v14, v14, v15, s8 :: v_dual_bitop2_b32 v27, 7, v13 bitop3:0x40
	v_dual_cndmask_b32 v16, v16, v17, s9 :: v_dual_cndmask_b32 v6, v3, v6, s7
	s_delay_alu instid0(VALU_DEP_3) | instskip(NEXT) | instid1(VALU_DEP_3)
	v_mul_u32_u24_e32 v25, 7, v25
	v_mul_u32_u24_e32 v15, 7, v27
	v_cndmask_b32_e64 v17, v4, v5, s6
	s_wait_dscnt 0x0
	v_cmp_gt_i32_e64 s6, v24, v20
	v_dual_add_nc_u32 v26, 1, v22 :: v_dual_min_i32 v19, v7, v25
	v_dual_add_nc_u32 v25, 1, v21 :: v_dual_cndmask_b32 v18, v1, v18, s10
	v_min_i32_e32 v4, v7, v15
	s_delay_alu instid0(VALU_DEP_3) | instskip(NEXT) | instid1(VALU_DEP_4)
	v_add_min_i32_e64 v1, v19, 28, v7
	; wave barrier
	v_cndmask_b32_e64 v5, v26, v22, s11
	s_delay_alu instid0(VALU_DEP_2) | instskip(NEXT) | instid1(VALU_DEP_2)
	v_add_min_i32_e64 v3, v1, 28, v7
	v_cmp_ge_i32_e64 s7, v5, v0
	v_lshl_add_u32 v0, v19, 2, v10
	s_delay_alu instid0(VALU_DEP_3) | instskip(SKIP_3) | instid1(VALU_DEP_2)
	v_sub_nc_u32_e32 v15, v3, v1
	v_cndmask_b32_e64 v21, v21, v25, s11
	s_or_b32 s6, s7, s6
	s_mov_b32 s7, exec_lo
	v_sub_nc_u32_e32 v25, v4, v15
	v_cmp_ge_i32_e64 s9, v4, v15
	v_sub_nc_u32_e32 v22, v1, v19
	v_cmp_lt_i32_e64 s8, v21, v2
	s_delay_alu instid0(VALU_DEP_2)
	v_dual_cndmask_b32 v2, 0, v25, s9 :: v_dual_min_i32 v5, v4, v22
	s_and_b32 s6, s8, s6
	s_mov_b32 s8, 0
	v_cndmask_b32_e64 v15, v20, v24, s6
	ds_store_2addr_b32 v11, v17, v6 offset1:1
	ds_store_2addr_b32 v11, v14, v16 offset0:2 offset1:3
	ds_store_2addr_b32 v11, v18, v23 offset0:4 offset1:5
	ds_store_b32 v11, v15 offset:24
	; wave barrier
	v_cmpx_lt_i32_e64 v2, v5
	s_cbranch_execz .LBB0_80
; %bb.77:
	v_dual_lshlrev_b32 v6, 2, v1 :: v_dual_lshlrev_b32 v14, 2, v4
	s_delay_alu instid0(VALU_DEP_1)
	v_add3_u32 v6, v10, v6, v14
.LBB0_78:                               ; =>This Inner Loop Header: Depth=1
	v_sub_nc_u32_e32 v14, v5, v2
	s_delay_alu instid0(VALU_DEP_1) | instskip(NEXT) | instid1(VALU_DEP_1)
	v_lshrrev_b32_e32 v14, 1, v14
	v_add_nc_u32_e32 v14, v14, v2
	s_delay_alu instid0(VALU_DEP_1) | instskip(SKIP_1) | instid1(VALU_DEP_2)
	v_not_b32_e32 v15, v14
	v_lshl_add_u32 v16, v14, 2, v0
	v_lshl_add_u32 v15, v15, 2, v6
	ds_load_b32 v16, v16
	ds_load_b32 v15, v15
	s_wait_dscnt 0x0
	v_cmp_gt_i32_e64 s6, v15, v16
	v_add_nc_u32_e32 v17, 1, v14
	s_delay_alu instid0(VALU_DEP_1) | instskip(SKIP_1) | instid1(VALU_DEP_1)
	v_cndmask_b32_e64 v2, v17, v2, s6
	v_cndmask_b32_e64 v5, v5, v14, s6
	v_cmp_ge_i32_e64 s6, v2, v5
	s_or_b32 s8, s6, s8
	s_delay_alu instid0(SALU_CYCLE_1)
	s_and_not1_b32 exec_lo, exec_lo, s8
	s_cbranch_execnz .LBB0_78
; %bb.79:
	s_or_b32 exec_lo, exec_lo, s8
.LBB0_80:
	s_delay_alu instid0(SALU_CYCLE_1) | instskip(SKIP_2) | instid1(VALU_DEP_2)
	s_or_b32 exec_lo, exec_lo, s7
	v_add_nc_u32_e32 v4, v1, v4
	v_lshl_add_u32 v6, v2, 2, v0
	v_dual_sub_nc_u32 v14, v4, v2 :: v_dual_add_nc_u32 v2, v2, v19
                                        ; implicit-def: $vgpr4
	s_delay_alu instid0(VALU_DEP_1) | instskip(NEXT) | instid1(VALU_DEP_2)
	v_lshl_add_u32 v15, v14, 2, v10
	v_cmp_le_i32_e64 s6, v1, v2
	v_cmp_gt_i32_e64 s8, v3, v14
	ds_load_b32 v0, v6
	ds_load_b32 v5, v15
	s_wait_dscnt 0x0
	v_cmp_gt_i32_e64 s7, v5, v0
	s_or_b32 s6, s6, s7
	s_delay_alu instid0(SALU_CYCLE_1) | instskip(NEXT) | instid1(SALU_CYCLE_1)
	s_and_b32 s6, s8, s6
	s_xor_b32 s7, s6, -1
	s_delay_alu instid0(SALU_CYCLE_1) | instskip(NEXT) | instid1(SALU_CYCLE_1)
	s_and_saveexec_b32 s8, s7
	s_xor_b32 s7, exec_lo, s8
; %bb.81:
	ds_load_b32 v4, v6 offset:4
                                        ; implicit-def: $vgpr15
; %bb.82:
	s_or_saveexec_b32 s7, s7
	v_mov_b32_e32 v6, v5
	s_xor_b32 exec_lo, exec_lo, s7
	s_cbranch_execz .LBB0_84
; %bb.83:
	ds_load_b32 v6, v15 offset:4
	s_wait_dscnt 0x1
	v_mov_b32_e32 v4, v0
.LBB0_84:
	s_or_b32 exec_lo, exec_lo, s7
	v_add_nc_u32_e32 v17, 1, v14
	v_add_nc_u32_e32 v15, 1, v2
	s_wait_dscnt 0x0
	v_cmp_gt_i32_e64 s8, v6, v4
	s_delay_alu instid0(VALU_DEP_2) | instskip(NEXT) | instid1(VALU_DEP_1)
	v_dual_cndmask_b32 v16, v15, v2, s6 :: v_dual_cndmask_b32 v2, v14, v17, s6
                                        ; implicit-def: $vgpr14
	v_cmp_ge_i32_e64 s7, v16, v1
	s_delay_alu instid0(VALU_DEP_2) | instskip(SKIP_1) | instid1(SALU_CYCLE_1)
	v_cmp_lt_i32_e64 s9, v2, v3
	s_or_b32 s7, s7, s8
	s_and_b32 s7, s9, s7
	s_delay_alu instid0(SALU_CYCLE_1) | instskip(NEXT) | instid1(SALU_CYCLE_1)
	s_xor_b32 s8, s7, -1
	s_and_saveexec_b32 s9, s8
	s_delay_alu instid0(SALU_CYCLE_1)
	s_xor_b32 s8, exec_lo, s9
; %bb.85:
	v_lshl_add_u32 v14, v16, 2, v10
	ds_load_b32 v14, v14 offset:4
; %bb.86:
	s_or_saveexec_b32 s8, s8
	v_mov_b32_e32 v15, v6
	s_xor_b32 exec_lo, exec_lo, s8
	s_cbranch_execz .LBB0_88
; %bb.87:
	s_wait_dscnt 0x0
	v_lshl_add_u32 v14, v2, 2, v10
	ds_load_b32 v15, v14 offset:4
	v_mov_b32_e32 v14, v4
.LBB0_88:
	s_or_b32 exec_lo, exec_lo, s8
	v_dual_add_nc_u32 v17, 1, v16 :: v_dual_add_nc_u32 v19, 1, v2
	s_wait_dscnt 0x0
	s_delay_alu instid0(VALU_DEP_2) | instskip(NEXT) | instid1(VALU_DEP_2)
	v_cmp_gt_i32_e64 s9, v15, v14
	v_dual_cndmask_b32 v18, v17, v16, s7 :: v_dual_cndmask_b32 v2, v2, v19, s7
                                        ; implicit-def: $vgpr16
	s_delay_alu instid0(VALU_DEP_1) | instskip(NEXT) | instid1(VALU_DEP_2)
	v_cmp_ge_i32_e64 s8, v18, v1
	v_cmp_lt_i32_e64 s10, v2, v3
	s_or_b32 s8, s8, s9
	s_delay_alu instid0(SALU_CYCLE_1) | instskip(NEXT) | instid1(SALU_CYCLE_1)
	s_and_b32 s8, s10, s8
	s_xor_b32 s9, s8, -1
	s_delay_alu instid0(SALU_CYCLE_1) | instskip(NEXT) | instid1(SALU_CYCLE_1)
	s_and_saveexec_b32 s10, s9
	s_xor_b32 s9, exec_lo, s10
; %bb.89:
	v_lshl_add_u32 v16, v18, 2, v10
	ds_load_b32 v16, v16 offset:4
; %bb.90:
	s_or_saveexec_b32 s9, s9
	v_mov_b32_e32 v17, v15
	s_xor_b32 exec_lo, exec_lo, s9
	s_cbranch_execz .LBB0_92
; %bb.91:
	s_wait_dscnt 0x0
	v_lshl_add_u32 v16, v2, 2, v10
	ds_load_b32 v17, v16 offset:4
	v_mov_b32_e32 v16, v14
.LBB0_92:
	s_or_b32 exec_lo, exec_lo, s9
	v_add_nc_u32_e32 v19, 1, v18
	v_add_nc_u32_e32 v21, 1, v2
	s_wait_dscnt 0x0
	v_cmp_gt_i32_e64 s10, v17, v16
	s_delay_alu instid0(VALU_DEP_2) | instskip(NEXT) | instid1(VALU_DEP_1)
	v_dual_cndmask_b32 v20, v19, v18, s8 :: v_dual_cndmask_b32 v19, v2, v21, s8
                                        ; implicit-def: $vgpr2
	v_cmp_ge_i32_e64 s9, v20, v1
	s_delay_alu instid0(VALU_DEP_2) | instskip(SKIP_1) | instid1(SALU_CYCLE_1)
	v_cmp_lt_i32_e64 s11, v19, v3
	s_or_b32 s9, s9, s10
	s_and_b32 s9, s11, s9
	s_delay_alu instid0(SALU_CYCLE_1) | instskip(NEXT) | instid1(SALU_CYCLE_1)
	s_xor_b32 s10, s9, -1
	s_and_saveexec_b32 s11, s10
	s_delay_alu instid0(SALU_CYCLE_1)
	s_xor_b32 s10, exec_lo, s11
; %bb.93:
	v_lshl_add_u32 v2, v20, 2, v10
	ds_load_b32 v2, v2 offset:4
; %bb.94:
	s_or_saveexec_b32 s10, s10
	v_mov_b32_e32 v18, v17
	s_xor_b32 exec_lo, exec_lo, s10
	s_cbranch_execz .LBB0_96
; %bb.95:
	s_wait_dscnt 0x0
	v_lshl_add_u32 v2, v19, 2, v10
	ds_load_b32 v18, v2 offset:4
	v_mov_b32_e32 v2, v16
.LBB0_96:
	s_or_b32 exec_lo, exec_lo, s10
	v_dual_add_nc_u32 v21, 1, v20 :: v_dual_add_nc_u32 v22, 1, v19
	s_wait_dscnt 0x0
	s_delay_alu instid0(VALU_DEP_2) | instskip(NEXT) | instid1(VALU_DEP_2)
	v_cmp_gt_i32_e64 s11, v18, v2
	v_dual_cndmask_b32 v21, v21, v20, s9 :: v_dual_cndmask_b32 v20, v19, v22, s9
                                        ; implicit-def: $vgpr19
	s_delay_alu instid0(VALU_DEP_1) | instskip(NEXT) | instid1(VALU_DEP_2)
	v_cmp_ge_i32_e64 s10, v21, v1
	v_cmp_lt_i32_e64 s12, v20, v3
	s_or_b32 s10, s10, s11
	s_delay_alu instid0(SALU_CYCLE_1) | instskip(NEXT) | instid1(SALU_CYCLE_1)
	s_and_b32 s10, s12, s10
	s_xor_b32 s11, s10, -1
	s_delay_alu instid0(SALU_CYCLE_1) | instskip(NEXT) | instid1(SALU_CYCLE_1)
	s_and_saveexec_b32 s12, s11
	s_xor_b32 s11, exec_lo, s12
; %bb.97:
	v_lshl_add_u32 v19, v21, 2, v10
	ds_load_b32 v19, v19 offset:4
; %bb.98:
	s_or_saveexec_b32 s11, s11
	v_mov_b32_e32 v23, v18
	s_xor_b32 exec_lo, exec_lo, s11
	s_cbranch_execz .LBB0_100
; %bb.99:
	s_wait_dscnt 0x0
	v_lshl_add_u32 v19, v20, 2, v10
	ds_load_b32 v23, v19 offset:4
	v_mov_b32_e32 v19, v2
.LBB0_100:
	s_or_b32 exec_lo, exec_lo, s11
	v_dual_add_nc_u32 v22, 1, v21 :: v_dual_add_nc_u32 v24, 1, v20
	s_wait_dscnt 0x0
	s_delay_alu instid0(VALU_DEP_2) | instskip(NEXT) | instid1(VALU_DEP_2)
	v_cmp_gt_i32_e64 s12, v23, v19
	v_dual_cndmask_b32 v22, v22, v21, s10 :: v_dual_cndmask_b32 v21, v20, v24, s10
                                        ; implicit-def: $vgpr20
	s_delay_alu instid0(VALU_DEP_1) | instskip(NEXT) | instid1(VALU_DEP_2)
	v_cmp_ge_i32_e64 s11, v22, v1
	v_cmp_lt_i32_e64 s13, v21, v3
	s_or_b32 s11, s11, s12
	s_delay_alu instid0(SALU_CYCLE_1) | instskip(NEXT) | instid1(SALU_CYCLE_1)
	s_and_b32 s11, s13, s11
	s_xor_b32 s12, s11, -1
	s_delay_alu instid0(SALU_CYCLE_1) | instskip(NEXT) | instid1(SALU_CYCLE_1)
	s_and_saveexec_b32 s13, s12
	s_xor_b32 s12, exec_lo, s13
; %bb.101:
	v_lshl_add_u32 v20, v22, 2, v10
	ds_load_b32 v20, v20 offset:4
; %bb.102:
	s_or_saveexec_b32 s12, s12
	v_mov_b32_e32 v24, v23
	s_xor_b32 exec_lo, exec_lo, s12
	s_cbranch_execz .LBB0_104
; %bb.103:
	s_wait_dscnt 0x0
	v_lshl_add_u32 v20, v21, 2, v10
	ds_load_b32 v24, v20 offset:4
	v_mov_b32_e32 v20, v19
.LBB0_104:
	s_or_b32 exec_lo, exec_lo, s12
	v_dual_cndmask_b32 v23, v19, v23, s11 :: v_dual_bitop2_b32 v25, 16, v13 bitop3:0x40
	v_dual_cndmask_b32 v14, v14, v15, s8 :: v_dual_bitop2_b32 v13, 15, v13 bitop3:0x40
	s_delay_alu instid0(VALU_DEP_2) | instskip(NEXT) | instid1(VALU_DEP_2)
	v_mul_u32_u24_e32 v25, 7, v25
	; wave barrier
	v_mul_u32_u24_e32 v13, 7, v13
	v_cndmask_b32_e64 v6, v4, v6, s7
	s_delay_alu instid0(VALU_DEP_3) | instskip(SKIP_2) | instid1(VALU_DEP_3)
	v_dual_add_nc_u32 v26, 1, v22 :: v_dual_min_i32 v19, v7, v25
	v_dual_add_nc_u32 v25, 1, v21 :: v_dual_cndmask_b32 v18, v2, v18, s10
	v_cndmask_b32_e64 v16, v16, v17, s9
	v_add_min_i32_e64 v2, v19, 56, v7
	s_delay_alu instid0(VALU_DEP_4)
	v_dual_cndmask_b32 v15, v0, v5, s6 :: v_dual_cndmask_b32 v5, v26, v22, s11
	v_min_i32_e32 v0, v7, v13
	s_wait_dscnt 0x0
	v_cmp_gt_i32_e64 s6, v24, v20
	v_add_min_i32_e64 v4, v2, 56, v7
	v_cndmask_b32_e64 v17, v21, v25, s11
	v_cmp_ge_i32_e64 s7, v5, v1
	s_delay_alu instid0(VALU_DEP_3) | instskip(NEXT) | instid1(VALU_DEP_3)
	v_dual_sub_nc_u32 v21, v2, v19 :: v_dual_sub_nc_u32 v13, v4, v2
	v_cmp_lt_i32_e64 s8, v17, v3
	s_or_b32 s6, s7, s6
	v_lshl_add_u32 v3, v19, 2, v10
	s_mov_b32 s7, exec_lo
	v_sub_nc_u32_e32 v22, v0, v13
	v_cmp_ge_i32_e64 s9, v0, v13
	v_min_i32_e32 v5, v0, v21
	s_and_b32 s6, s8, s6
	s_mov_b32 s8, 0
	v_dual_cndmask_b32 v13, v20, v24, s6 :: v_dual_cndmask_b32 v1, 0, v22, s9
	ds_store_2addr_b32 v11, v15, v6 offset1:1
	ds_store_2addr_b32 v11, v14, v16 offset0:2 offset1:3
	ds_store_2addr_b32 v11, v18, v23 offset0:4 offset1:5
	ds_store_b32 v11, v13 offset:24
	; wave barrier
	v_cmpx_lt_i32_e64 v1, v5
	s_cbranch_execz .LBB0_108
; %bb.105:
	v_dual_lshlrev_b32 v6, 2, v2 :: v_dual_lshlrev_b32 v13, 2, v0
	s_delay_alu instid0(VALU_DEP_1)
	v_add3_u32 v6, v10, v6, v13
.LBB0_106:                              ; =>This Inner Loop Header: Depth=1
	v_sub_nc_u32_e32 v13, v5, v1
	s_delay_alu instid0(VALU_DEP_1) | instskip(NEXT) | instid1(VALU_DEP_1)
	v_lshrrev_b32_e32 v13, 1, v13
	v_add_nc_u32_e32 v13, v13, v1
	s_delay_alu instid0(VALU_DEP_1) | instskip(SKIP_1) | instid1(VALU_DEP_2)
	v_not_b32_e32 v14, v13
	v_lshl_add_u32 v15, v13, 2, v3
	v_lshl_add_u32 v14, v14, 2, v6
	ds_load_b32 v15, v15
	ds_load_b32 v14, v14
	s_wait_dscnt 0x0
	v_cmp_gt_i32_e64 s6, v14, v15
	s_delay_alu instid0(VALU_DEP_1) | instskip(NEXT) | instid1(VALU_DEP_1)
	v_dual_add_nc_u32 v16, 1, v13 :: v_dual_cndmask_b32 v5, v5, v13, s6
	v_cndmask_b32_e64 v1, v16, v1, s6
	s_delay_alu instid0(VALU_DEP_1) | instskip(SKIP_1) | instid1(SALU_CYCLE_1)
	v_cmp_ge_i32_e64 s6, v1, v5
	s_or_b32 s8, s6, s8
	s_and_not1_b32 exec_lo, exec_lo, s8
	s_cbranch_execnz .LBB0_106
; %bb.107:
	s_or_b32 exec_lo, exec_lo, s8
.LBB0_108:
	s_delay_alu instid0(SALU_CYCLE_1) | instskip(SKIP_2) | instid1(VALU_DEP_2)
	s_or_b32 exec_lo, exec_lo, s7
	v_dual_add_nc_u32 v0, v2, v0 :: v_dual_add_nc_u32 v13, v1, v19
	v_lshl_add_u32 v6, v1, 2, v3
	v_sub_nc_u32_e32 v0, v0, v1
	s_delay_alu instid0(VALU_DEP_3) | instskip(NEXT) | instid1(VALU_DEP_2)
	v_cmp_le_i32_e64 s6, v2, v13
                                        ; implicit-def: $vgpr1
	v_lshl_add_u32 v14, v0, 2, v10
	v_cmp_gt_i32_e64 s8, v4, v0
	ds_load_b32 v3, v6
	ds_load_b32 v5, v14
	s_wait_dscnt 0x0
	v_cmp_gt_i32_e64 s7, v5, v3
	s_or_b32 s6, s6, s7
	s_delay_alu instid0(SALU_CYCLE_1) | instskip(NEXT) | instid1(SALU_CYCLE_1)
	s_and_b32 s6, s8, s6
	s_xor_b32 s7, s6, -1
	s_delay_alu instid0(SALU_CYCLE_1) | instskip(NEXT) | instid1(SALU_CYCLE_1)
	s_and_saveexec_b32 s8, s7
	s_xor_b32 s7, exec_lo, s8
; %bb.109:
	ds_load_b32 v1, v6 offset:4
                                        ; implicit-def: $vgpr14
; %bb.110:
	s_or_saveexec_b32 s7, s7
	v_mov_b32_e32 v6, v5
	s_xor_b32 exec_lo, exec_lo, s7
	s_cbranch_execz .LBB0_112
; %bb.111:
	ds_load_b32 v6, v14 offset:4
	s_wait_dscnt 0x1
	v_mov_b32_e32 v1, v3
.LBB0_112:
	s_or_b32 exec_lo, exec_lo, s7
	v_dual_add_nc_u32 v14, 1, v13 :: v_dual_add_nc_u32 v16, 1, v0
	s_wait_dscnt 0x0
	s_delay_alu instid0(VALU_DEP_2) | instskip(NEXT) | instid1(VALU_DEP_2)
	v_cmp_gt_i32_e64 s8, v6, v1
	v_dual_cndmask_b32 v15, v14, v13, s6 :: v_dual_cndmask_b32 v0, v0, v16, s6
                                        ; implicit-def: $vgpr13
	s_delay_alu instid0(VALU_DEP_1) | instskip(NEXT) | instid1(VALU_DEP_2)
	v_cmp_ge_i32_e64 s7, v15, v2
	v_cmp_lt_i32_e64 s9, v0, v4
	s_or_b32 s7, s7, s8
	s_delay_alu instid0(SALU_CYCLE_1) | instskip(NEXT) | instid1(SALU_CYCLE_1)
	s_and_b32 s7, s9, s7
	s_xor_b32 s8, s7, -1
	s_delay_alu instid0(SALU_CYCLE_1) | instskip(NEXT) | instid1(SALU_CYCLE_1)
	s_and_saveexec_b32 s9, s8
	s_xor_b32 s8, exec_lo, s9
; %bb.113:
	v_lshl_add_u32 v13, v15, 2, v10
	ds_load_b32 v13, v13 offset:4
; %bb.114:
	s_or_saveexec_b32 s8, s8
	v_mov_b32_e32 v14, v6
	s_xor_b32 exec_lo, exec_lo, s8
	s_cbranch_execz .LBB0_116
; %bb.115:
	s_wait_dscnt 0x0
	v_lshl_add_u32 v13, v0, 2, v10
	ds_load_b32 v14, v13 offset:4
	v_mov_b32_e32 v13, v1
.LBB0_116:
	s_or_b32 exec_lo, exec_lo, s8
	v_dual_add_nc_u32 v16, 1, v15 :: v_dual_add_nc_u32 v18, 1, v0
	s_wait_dscnt 0x0
	s_delay_alu instid0(VALU_DEP_2) | instskip(NEXT) | instid1(VALU_DEP_2)
	v_cmp_gt_i32_e64 s9, v14, v13
	v_cndmask_b32_e64 v17, v16, v15, s7
	s_delay_alu instid0(VALU_DEP_3) | instskip(NEXT) | instid1(VALU_DEP_2)
	v_cndmask_b32_e64 v0, v0, v18, s7
                                        ; implicit-def: $vgpr15
	v_cmp_ge_i32_e64 s8, v17, v2
	s_delay_alu instid0(VALU_DEP_2) | instskip(SKIP_1) | instid1(SALU_CYCLE_1)
	v_cmp_lt_i32_e64 s10, v0, v4
	s_or_b32 s8, s8, s9
	s_and_b32 s8, s10, s8
	s_delay_alu instid0(SALU_CYCLE_1) | instskip(NEXT) | instid1(SALU_CYCLE_1)
	s_xor_b32 s9, s8, -1
	s_and_saveexec_b32 s10, s9
	s_delay_alu instid0(SALU_CYCLE_1)
	s_xor_b32 s9, exec_lo, s10
; %bb.117:
	v_lshl_add_u32 v15, v17, 2, v10
	ds_load_b32 v15, v15 offset:4
; %bb.118:
	s_or_saveexec_b32 s9, s9
	v_mov_b32_e32 v16, v14
	s_xor_b32 exec_lo, exec_lo, s9
	s_cbranch_execz .LBB0_120
; %bb.119:
	s_wait_dscnt 0x0
	v_lshl_add_u32 v15, v0, 2, v10
	ds_load_b32 v16, v15 offset:4
	v_mov_b32_e32 v15, v13
.LBB0_120:
	s_or_b32 exec_lo, exec_lo, s9
	v_dual_add_nc_u32 v18, 1, v17 :: v_dual_add_nc_u32 v20, 1, v0
	s_wait_dscnt 0x0
	s_delay_alu instid0(VALU_DEP_2) | instskip(NEXT) | instid1(VALU_DEP_2)
	v_cmp_gt_i32_e64 s10, v16, v15
	v_dual_cndmask_b32 v19, v18, v17, s8 :: v_dual_cndmask_b32 v0, v0, v20, s8
                                        ; implicit-def: $vgpr17
	s_delay_alu instid0(VALU_DEP_1) | instskip(NEXT) | instid1(VALU_DEP_2)
	v_cmp_ge_i32_e64 s9, v19, v2
	v_cmp_lt_i32_e64 s11, v0, v4
	s_or_b32 s9, s9, s10
	s_delay_alu instid0(SALU_CYCLE_1) | instskip(NEXT) | instid1(SALU_CYCLE_1)
	s_and_b32 s9, s11, s9
	s_xor_b32 s10, s9, -1
	s_delay_alu instid0(SALU_CYCLE_1) | instskip(NEXT) | instid1(SALU_CYCLE_1)
	s_and_saveexec_b32 s11, s10
	s_xor_b32 s10, exec_lo, s11
; %bb.121:
	v_lshl_add_u32 v17, v19, 2, v10
	ds_load_b32 v17, v17 offset:4
; %bb.122:
	s_or_saveexec_b32 s10, s10
	v_mov_b32_e32 v18, v16
	s_xor_b32 exec_lo, exec_lo, s10
	s_cbranch_execz .LBB0_124
; %bb.123:
	s_wait_dscnt 0x0
	v_lshl_add_u32 v17, v0, 2, v10
	ds_load_b32 v18, v17 offset:4
	v_mov_b32_e32 v17, v15
.LBB0_124:
	s_or_b32 exec_lo, exec_lo, s10
	v_dual_add_nc_u32 v20, 1, v19 :: v_dual_add_nc_u32 v21, 1, v0
	s_wait_dscnt 0x0
	s_delay_alu instid0(VALU_DEP_2) | instskip(NEXT) | instid1(VALU_DEP_2)
	v_cmp_gt_i32_e64 s11, v18, v17
	v_cndmask_b32_e64 v20, v20, v19, s9
	s_delay_alu instid0(VALU_DEP_3) | instskip(NEXT) | instid1(VALU_DEP_2)
	v_cndmask_b32_e64 v19, v0, v21, s9
                                        ; implicit-def: $vgpr0
	v_cmp_ge_i32_e64 s10, v20, v2
	s_delay_alu instid0(VALU_DEP_2) | instskip(SKIP_1) | instid1(SALU_CYCLE_1)
	v_cmp_lt_i32_e64 s12, v19, v4
	s_or_b32 s10, s10, s11
	s_and_b32 s10, s12, s10
	s_delay_alu instid0(SALU_CYCLE_1) | instskip(NEXT) | instid1(SALU_CYCLE_1)
	s_xor_b32 s11, s10, -1
	s_and_saveexec_b32 s12, s11
	s_delay_alu instid0(SALU_CYCLE_1)
	s_xor_b32 s11, exec_lo, s12
; %bb.125:
	v_lshl_add_u32 v0, v20, 2, v10
	ds_load_b32 v0, v0 offset:4
; %bb.126:
	s_or_saveexec_b32 s11, s11
	v_mov_b32_e32 v23, v18
	s_xor_b32 exec_lo, exec_lo, s11
	s_cbranch_execz .LBB0_128
; %bb.127:
	s_wait_dscnt 0x0
	v_lshl_add_u32 v0, v19, 2, v10
	ds_load_b32 v23, v0 offset:4
	v_mov_b32_e32 v0, v17
.LBB0_128:
	s_or_b32 exec_lo, exec_lo, s11
	v_dual_add_nc_u32 v21, 1, v20 :: v_dual_add_nc_u32 v24, 1, v19
	s_wait_dscnt 0x0
	s_delay_alu instid0(VALU_DEP_2) | instskip(NEXT) | instid1(VALU_DEP_2)
	v_cmp_gt_i32_e64 s12, v23, v0
	v_cndmask_b32_e64 v22, v21, v20, s10
	s_delay_alu instid0(VALU_DEP_3) | instskip(NEXT) | instid1(VALU_DEP_2)
	v_cndmask_b32_e64 v21, v19, v24, s10
                                        ; implicit-def: $vgpr20
	v_cmp_ge_i32_e64 s11, v22, v2
	s_delay_alu instid0(VALU_DEP_2) | instskip(SKIP_1) | instid1(SALU_CYCLE_1)
	v_cmp_lt_i32_e64 s13, v21, v4
	s_or_b32 s11, s11, s12
	s_and_b32 s11, s13, s11
	s_delay_alu instid0(SALU_CYCLE_1) | instskip(NEXT) | instid1(SALU_CYCLE_1)
	s_xor_b32 s12, s11, -1
	s_and_saveexec_b32 s13, s12
	s_delay_alu instid0(SALU_CYCLE_1)
	s_xor_b32 s12, exec_lo, s13
; %bb.129:
	v_lshl_add_u32 v19, v22, 2, v10
	ds_load_b32 v20, v19 offset:4
; %bb.130:
	s_or_saveexec_b32 s12, s12
	v_mov_b32_e32 v24, v23
	s_xor_b32 exec_lo, exec_lo, s12
	s_cbranch_execz .LBB0_132
; %bb.131:
	v_lshl_add_u32 v19, v21, 2, v10
	s_wait_dscnt 0x0
	v_mov_b32_e32 v20, v0
	ds_load_b32 v24, v19 offset:4
.LBB0_132:
	s_or_b32 exec_lo, exec_lo, s12
	v_dual_add_nc_u32 v25, 1, v21 :: v_dual_min_i32 v19, 0, v7
	v_dual_cndmask_b32 v23, v0, v23, s11 :: v_dual_add_nc_u32 v26, 1, v22
	v_cndmask_b32_e64 v6, v1, v6, s7
	s_delay_alu instid0(VALU_DEP_3) | instskip(SKIP_2) | instid1(VALU_DEP_3)
	v_add_min_i32_e64 v0, 0x70, v19, v7
	v_dual_cndmask_b32 v13, v13, v14, s8 :: v_dual_cndmask_b32 v14, v3, v5, s6
	v_dual_cndmask_b32 v12, v21, v25, s11 :: v_dual_min_i32 v3, v7, v12
	v_add_min_i32_e64 v1, 0x70, v0, v7
	s_wait_dscnt 0x0
	v_cmp_gt_i32_e64 s6, v24, v20
	v_dual_cndmask_b32 v17, v17, v18, s10 :: v_dual_cndmask_b32 v15, v15, v16, s9
	s_delay_alu instid0(VALU_DEP_3) | instskip(SKIP_2) | instid1(VALU_DEP_3)
	v_dual_sub_nc_u32 v16, v0, v19 :: v_dual_sub_nc_u32 v7, v1, v0
	v_cndmask_b32_e64 v5, v26, v22, s11
	v_cmp_lt_i32_e64 s8, v12, v4
	; wave barrier
	v_sub_nc_u32_e32 v18, v3, v7
	s_delay_alu instid0(VALU_DEP_3)
	v_cmp_ge_i32_e64 s7, v5, v2
	v_cmp_ge_i32_e64 s9, v3, v7
	v_min_i32_e32 v5, v3, v16
	v_lshl_add_u32 v2, v19, 2, v10
	s_or_b32 s6, s7, s6
	s_mov_b32 s7, exec_lo
	s_and_b32 s6, s8, s6
	s_delay_alu instid0(SALU_CYCLE_1)
	v_dual_cndmask_b32 v4, 0, v18, s9 :: v_dual_cndmask_b32 v7, v20, v24, s6
	s_mov_b32 s8, 0
	ds_store_2addr_b32 v11, v14, v6 offset1:1
	ds_store_2addr_b32 v11, v13, v15 offset0:2 offset1:3
	ds_store_2addr_b32 v11, v17, v23 offset0:4 offset1:5
	ds_store_b32 v11, v7 offset:24
	; wave barrier
	v_cmpx_lt_i32_e64 v4, v5
	s_cbranch_execz .LBB0_136
; %bb.133:
	v_dual_lshlrev_b32 v6, 2, v0 :: v_dual_lshlrev_b32 v7, 2, v3
	s_delay_alu instid0(VALU_DEP_1)
	v_add3_u32 v6, v10, v6, v7
.LBB0_134:                              ; =>This Inner Loop Header: Depth=1
	v_sub_nc_u32_e32 v7, v5, v4
	s_delay_alu instid0(VALU_DEP_1) | instskip(NEXT) | instid1(VALU_DEP_1)
	v_lshrrev_b32_e32 v7, 1, v7
	v_add_nc_u32_e32 v7, v7, v4
	s_delay_alu instid0(VALU_DEP_1) | instskip(SKIP_1) | instid1(VALU_DEP_2)
	v_not_b32_e32 v11, v7
	v_lshl_add_u32 v12, v7, 2, v2
	v_lshl_add_u32 v11, v11, 2, v6
	ds_load_b32 v12, v12
	ds_load_b32 v11, v11
	s_wait_dscnt 0x0
	v_cmp_gt_i32_e64 s6, v11, v12
	s_delay_alu instid0(VALU_DEP_1) | instskip(NEXT) | instid1(VALU_DEP_1)
	v_dual_add_nc_u32 v13, 1, v7 :: v_dual_cndmask_b32 v5, v5, v7, s6
	v_cndmask_b32_e64 v4, v13, v4, s6
	s_delay_alu instid0(VALU_DEP_1) | instskip(SKIP_1) | instid1(SALU_CYCLE_1)
	v_cmp_ge_i32_e64 s6, v4, v5
	s_or_b32 s8, s6, s8
	s_and_not1_b32 exec_lo, exec_lo, s8
	s_cbranch_execnz .LBB0_134
; %bb.135:
	s_or_b32 exec_lo, exec_lo, s8
.LBB0_136:
	s_delay_alu instid0(SALU_CYCLE_1) | instskip(SKIP_2) | instid1(VALU_DEP_2)
	s_or_b32 exec_lo, exec_lo, s7
	v_add_nc_u32_e32 v3, v0, v3
	v_lshl_add_u32 v5, v4, 2, v2
	v_dual_add_nc_u32 v7, v4, v19 :: v_dual_sub_nc_u32 v6, v3, v4
                                        ; implicit-def: $vgpr4
	s_delay_alu instid0(VALU_DEP_1) | instskip(NEXT) | instid1(VALU_DEP_2)
	v_cmp_le_i32_e64 s6, v0, v7
	v_lshl_add_u32 v11, v6, 2, v10
	v_cmp_gt_i32_e64 s8, v1, v6
	ds_load_b32 v2, v5
	ds_load_b32 v3, v11
	s_wait_dscnt 0x0
	v_cmp_gt_i32_e64 s7, v3, v2
	s_or_b32 s6, s6, s7
	s_delay_alu instid0(SALU_CYCLE_1) | instskip(NEXT) | instid1(SALU_CYCLE_1)
	s_and_b32 s6, s8, s6
	s_xor_b32 s7, s6, -1
	s_delay_alu instid0(SALU_CYCLE_1) | instskip(NEXT) | instid1(SALU_CYCLE_1)
	s_and_saveexec_b32 s8, s7
	s_xor_b32 s7, exec_lo, s8
; %bb.137:
	ds_load_b32 v4, v5 offset:4
                                        ; implicit-def: $vgpr11
; %bb.138:
	s_or_saveexec_b32 s7, s7
	v_mov_b32_e32 v5, v3
	s_xor_b32 exec_lo, exec_lo, s7
	s_cbranch_execz .LBB0_140
; %bb.139:
	ds_load_b32 v5, v11 offset:4
	s_wait_dscnt 0x1
	v_mov_b32_e32 v4, v2
.LBB0_140:
	s_or_b32 exec_lo, exec_lo, s7
	v_dual_add_nc_u32 v11, 1, v7 :: v_dual_add_nc_u32 v13, 1, v6
	s_wait_dscnt 0x0
	s_delay_alu instid0(VALU_DEP_2) | instskip(NEXT) | instid1(VALU_DEP_2)
	v_cmp_gt_i32_e64 s8, v5, v4
	v_dual_cndmask_b32 v12, v11, v7, s6 :: v_dual_cndmask_b32 v11, v6, v13, s6
                                        ; implicit-def: $vgpr6
	s_delay_alu instid0(VALU_DEP_1) | instskip(NEXT) | instid1(VALU_DEP_2)
	v_cmp_ge_i32_e64 s7, v12, v0
	v_cmp_lt_i32_e64 s9, v11, v1
	s_or_b32 s7, s7, s8
	s_delay_alu instid0(SALU_CYCLE_1) | instskip(NEXT) | instid1(SALU_CYCLE_1)
	s_and_b32 s7, s9, s7
	s_xor_b32 s8, s7, -1
	s_delay_alu instid0(SALU_CYCLE_1) | instskip(NEXT) | instid1(SALU_CYCLE_1)
	s_and_saveexec_b32 s9, s8
	s_xor_b32 s8, exec_lo, s9
; %bb.141:
	v_lshl_add_u32 v6, v12, 2, v10
	ds_load_b32 v6, v6 offset:4
; %bb.142:
	s_or_saveexec_b32 s8, s8
	v_mov_b32_e32 v7, v5
	s_xor_b32 exec_lo, exec_lo, s8
	s_cbranch_execz .LBB0_144
; %bb.143:
	s_wait_dscnt 0x0
	v_lshl_add_u32 v6, v11, 2, v10
	ds_load_b32 v7, v6 offset:4
	v_mov_b32_e32 v6, v4
.LBB0_144:
	s_or_b32 exec_lo, exec_lo, s8
	v_dual_add_nc_u32 v13, 1, v12 :: v_dual_add_nc_u32 v15, 1, v11
	s_wait_dscnt 0x0
	s_delay_alu instid0(VALU_DEP_2) | instskip(NEXT) | instid1(VALU_DEP_2)
	v_cmp_gt_i32_e64 s9, v7, v6
	v_dual_cndmask_b32 v14, v13, v12, s7 :: v_dual_cndmask_b32 v13, v11, v15, s7
                                        ; implicit-def: $vgpr11
	s_delay_alu instid0(VALU_DEP_1) | instskip(NEXT) | instid1(VALU_DEP_2)
	v_cmp_ge_i32_e64 s8, v14, v0
	v_cmp_lt_i32_e64 s10, v13, v1
	s_or_b32 s8, s8, s9
	s_delay_alu instid0(SALU_CYCLE_1) | instskip(NEXT) | instid1(SALU_CYCLE_1)
	s_and_b32 s8, s10, s8
	s_xor_b32 s9, s8, -1
	s_delay_alu instid0(SALU_CYCLE_1) | instskip(NEXT) | instid1(SALU_CYCLE_1)
	s_and_saveexec_b32 s10, s9
	s_xor_b32 s9, exec_lo, s10
; %bb.145:
	v_lshl_add_u32 v11, v14, 2, v10
	ds_load_b32 v11, v11 offset:4
; %bb.146:
	s_or_saveexec_b32 s9, s9
	v_mov_b32_e32 v12, v7
	s_xor_b32 exec_lo, exec_lo, s9
	s_cbranch_execz .LBB0_148
; %bb.147:
	s_wait_dscnt 0x0
	v_lshl_add_u32 v11, v13, 2, v10
	ds_load_b32 v12, v11 offset:4
	v_mov_b32_e32 v11, v6
.LBB0_148:
	s_or_b32 exec_lo, exec_lo, s9
	v_dual_add_nc_u32 v15, 1, v14 :: v_dual_add_nc_u32 v17, 1, v13
	s_wait_dscnt 0x0
	s_delay_alu instid0(VALU_DEP_2) | instskip(NEXT) | instid1(VALU_DEP_2)
	v_cmp_gt_i32_e64 s10, v12, v11
	v_dual_cndmask_b32 v16, v15, v14, s8 :: v_dual_cndmask_b32 v15, v13, v17, s8
                                        ; implicit-def: $vgpr13
	s_delay_alu instid0(VALU_DEP_1) | instskip(NEXT) | instid1(VALU_DEP_2)
	v_cmp_ge_i32_e64 s9, v16, v0
	v_cmp_lt_i32_e64 s11, v15, v1
	s_or_b32 s9, s9, s10
	s_delay_alu instid0(SALU_CYCLE_1) | instskip(NEXT) | instid1(SALU_CYCLE_1)
	s_and_b32 s9, s11, s9
	s_xor_b32 s10, s9, -1
	s_delay_alu instid0(SALU_CYCLE_1) | instskip(NEXT) | instid1(SALU_CYCLE_1)
	s_and_saveexec_b32 s11, s10
	s_xor_b32 s10, exec_lo, s11
; %bb.149:
	v_lshl_add_u32 v13, v16, 2, v10
	ds_load_b32 v13, v13 offset:4
; %bb.150:
	s_or_saveexec_b32 s10, s10
	v_mov_b32_e32 v14, v12
	s_xor_b32 exec_lo, exec_lo, s10
	s_cbranch_execz .LBB0_152
; %bb.151:
	s_wait_dscnt 0x0
	v_lshl_add_u32 v13, v15, 2, v10
	ds_load_b32 v14, v13 offset:4
	v_mov_b32_e32 v13, v11
.LBB0_152:
	s_or_b32 exec_lo, exec_lo, s10
	v_dual_add_nc_u32 v17, 1, v16 :: v_dual_add_nc_u32 v19, 1, v15
	s_wait_dscnt 0x0
	s_delay_alu instid0(VALU_DEP_2) | instskip(NEXT) | instid1(VALU_DEP_2)
	v_cmp_gt_i32_e64 s11, v14, v13
	v_dual_cndmask_b32 v18, v17, v16, s9 :: v_dual_cndmask_b32 v17, v15, v19, s9
                                        ; implicit-def: $vgpr15
	s_delay_alu instid0(VALU_DEP_1) | instskip(NEXT) | instid1(VALU_DEP_2)
	v_cmp_ge_i32_e64 s10, v18, v0
	v_cmp_lt_i32_e64 s12, v17, v1
	s_or_b32 s10, s10, s11
	s_delay_alu instid0(SALU_CYCLE_1) | instskip(NEXT) | instid1(SALU_CYCLE_1)
	s_and_b32 s10, s12, s10
	s_xor_b32 s11, s10, -1
	s_delay_alu instid0(SALU_CYCLE_1) | instskip(NEXT) | instid1(SALU_CYCLE_1)
	s_and_saveexec_b32 s12, s11
	s_xor_b32 s11, exec_lo, s12
; %bb.153:
	v_lshl_add_u32 v15, v18, 2, v10
	ds_load_b32 v15, v15 offset:4
; %bb.154:
	s_or_saveexec_b32 s11, s11
	v_mov_b32_e32 v16, v14
	s_xor_b32 exec_lo, exec_lo, s11
	s_cbranch_execz .LBB0_156
; %bb.155:
	s_wait_dscnt 0x0
	v_lshl_add_u32 v15, v17, 2, v10
	ds_load_b32 v16, v15 offset:4
	v_mov_b32_e32 v15, v13
.LBB0_156:
	s_or_b32 exec_lo, exec_lo, s11
	v_dual_add_nc_u32 v19, 1, v18 :: v_dual_add_nc_u32 v20, 1, v17
	s_wait_dscnt 0x0
	s_delay_alu instid0(VALU_DEP_2) | instskip(NEXT) | instid1(VALU_DEP_2)
	v_cmp_gt_i32_e64 s12, v16, v15
	v_dual_cndmask_b32 v21, v19, v18, s10 :: v_dual_cndmask_b32 v17, v17, v20, s10
                                        ; implicit-def: $vgpr18
                                        ; implicit-def: $vgpr19
	s_delay_alu instid0(VALU_DEP_1) | instskip(NEXT) | instid1(VALU_DEP_2)
	v_cmp_ge_i32_e64 s11, v21, v0
	v_cmp_lt_i32_e64 s13, v17, v1
	s_or_b32 s11, s11, s12
	s_delay_alu instid0(SALU_CYCLE_1) | instskip(NEXT) | instid1(SALU_CYCLE_1)
	s_and_b32 s11, s13, s11
	s_xor_b32 s12, s11, -1
	s_delay_alu instid0(SALU_CYCLE_1) | instskip(NEXT) | instid1(SALU_CYCLE_1)
	s_and_saveexec_b32 s13, s12
	s_xor_b32 s12, exec_lo, s13
	s_cbranch_execnz .LBB0_166
; %bb.157:
	s_or_saveexec_b32 s12, s12
	v_mov_b32_e32 v20, v16
	s_xor_b32 exec_lo, exec_lo, s12
	s_cbranch_execnz .LBB0_167
.LBB0_158:
	s_or_b32 exec_lo, exec_lo, s12
	s_and_saveexec_b32 s12, vcc_lo
	s_cbranch_execnz .LBB0_168
.LBB0_159:
	s_or_b32 exec_lo, exec_lo, s12
	s_and_saveexec_b32 s6, s0
	s_cbranch_execnz .LBB0_169
.LBB0_160:
	s_or_b32 exec_lo, exec_lo, s6
	s_and_saveexec_b32 s0, s1
	s_cbranch_execnz .LBB0_170
.LBB0_161:
	s_or_b32 exec_lo, exec_lo, s0
	s_and_saveexec_b32 s0, s2
	s_cbranch_execnz .LBB0_171
.LBB0_162:
	s_or_b32 exec_lo, exec_lo, s0
	s_and_saveexec_b32 s0, s3
	s_cbranch_execnz .LBB0_172
.LBB0_163:
	s_or_b32 exec_lo, exec_lo, s0
	s_and_saveexec_b32 s0, s4
	s_cbranch_execnz .LBB0_173
.LBB0_164:
	s_or_b32 exec_lo, exec_lo, s0
	s_and_saveexec_b32 s0, s5
	s_cbranch_execnz .LBB0_174
.LBB0_165:
	s_endpgm
.LBB0_166:
	v_lshl_add_u32 v10, v21, 2, v10
	v_add_nc_u32_e32 v19, 1, v21
                                        ; implicit-def: $vgpr21
	ds_load_b32 v18, v10 offset:4
                                        ; implicit-def: $vgpr10
	s_or_saveexec_b32 s12, s12
	v_mov_b32_e32 v20, v16
	s_xor_b32 exec_lo, exec_lo, s12
	s_cbranch_execz .LBB0_158
.LBB0_167:
	v_lshl_add_u32 v10, v17, 2, v10
	v_dual_add_nc_u32 v17, 1, v17 :: v_dual_mov_b32 v19, v21
	s_wait_dscnt 0x0
	v_mov_b32_e32 v18, v15
	ds_load_b32 v20, v10 offset:4
	s_or_b32 exec_lo, exec_lo, s12
	s_and_saveexec_b32 s12, vcc_lo
	s_cbranch_execz .LBB0_159
.LBB0_168:
	v_cndmask_b32_e64 v2, v2, v3, s6
	global_store_b32 v[8:9], v2, off
	s_wait_xcnt 0x0
	s_or_b32 exec_lo, exec_lo, s12
	s_and_saveexec_b32 s6, s0
	s_cbranch_execz .LBB0_160
.LBB0_169:
	v_cndmask_b32_e64 v2, v4, v5, s7
	global_store_b32 v[8:9], v2, off offset:4
	s_wait_xcnt 0x0
	s_or_b32 exec_lo, exec_lo, s6
	s_and_saveexec_b32 s0, s1
	s_cbranch_execz .LBB0_161
.LBB0_170:
	v_cndmask_b32_e64 v2, v6, v7, s8
	global_store_b32 v[8:9], v2, off offset:8
	s_wait_xcnt 0x0
	s_or_b32 exec_lo, exec_lo, s0
	s_and_saveexec_b32 s0, s2
	s_cbranch_execz .LBB0_162
.LBB0_171:
	v_cndmask_b32_e64 v2, v11, v12, s9
	global_store_b32 v[8:9], v2, off offset:12
	s_wait_xcnt 0x0
	s_or_b32 exec_lo, exec_lo, s0
	s_and_saveexec_b32 s0, s3
	s_cbranch_execz .LBB0_163
.LBB0_172:
	v_cndmask_b32_e64 v2, v13, v14, s10
	global_store_b32 v[8:9], v2, off offset:16
	s_wait_xcnt 0x0
	s_or_b32 exec_lo, exec_lo, s0
	s_and_saveexec_b32 s0, s4
	s_cbranch_execz .LBB0_164
.LBB0_173:
	v_cndmask_b32_e64 v2, v15, v16, s11
	global_store_b32 v[8:9], v2, off offset:20
	s_wait_xcnt 0x0
	s_or_b32 exec_lo, exec_lo, s0
	s_and_saveexec_b32 s0, s5
	s_cbranch_execz .LBB0_165
.LBB0_174:
	v_cmp_ge_i32_e32 vcc_lo, v19, v0
	s_wait_dscnt 0x0
	v_cmp_gt_i32_e64 s0, v20, v18
	v_cmp_lt_i32_e64 s1, v17, v1
	s_or_b32 s0, vcc_lo, s0
	s_delay_alu instid0(SALU_CYCLE_1)
	s_and_b32 vcc_lo, s1, s0
	v_cndmask_b32_e32 v0, v18, v20, vcc_lo
	global_store_b32 v[8:9], v0, off offset:24
	s_endpgm
	.section	.rodata,"a",@progbits
	.p2align	6, 0x0
	.amdhsa_kernel _Z19sort_keys_segmentedILj256ELj32ELj7ELb0EiN10test_utils7greaterEEvPT3_PKjT4_
		.amdhsa_group_segment_fixed_size 7200
		.amdhsa_private_segment_fixed_size 0
		.amdhsa_kernarg_size 20
		.amdhsa_user_sgpr_count 2
		.amdhsa_user_sgpr_dispatch_ptr 0
		.amdhsa_user_sgpr_queue_ptr 0
		.amdhsa_user_sgpr_kernarg_segment_ptr 1
		.amdhsa_user_sgpr_dispatch_id 0
		.amdhsa_user_sgpr_kernarg_preload_length 0
		.amdhsa_user_sgpr_kernarg_preload_offset 0
		.amdhsa_user_sgpr_private_segment_size 0
		.amdhsa_wavefront_size32 1
		.amdhsa_uses_dynamic_stack 0
		.amdhsa_enable_private_segment 0
		.amdhsa_system_sgpr_workgroup_id_x 1
		.amdhsa_system_sgpr_workgroup_id_y 0
		.amdhsa_system_sgpr_workgroup_id_z 0
		.amdhsa_system_sgpr_workgroup_info 0
		.amdhsa_system_vgpr_workitem_id 0
		.amdhsa_next_free_vgpr 28
		.amdhsa_next_free_sgpr 14
		.amdhsa_named_barrier_count 0
		.amdhsa_reserve_vcc 1
		.amdhsa_float_round_mode_32 0
		.amdhsa_float_round_mode_16_64 0
		.amdhsa_float_denorm_mode_32 3
		.amdhsa_float_denorm_mode_16_64 3
		.amdhsa_fp16_overflow 0
		.amdhsa_memory_ordered 1
		.amdhsa_forward_progress 1
		.amdhsa_inst_pref_size 65
		.amdhsa_round_robin_scheduling 0
		.amdhsa_exception_fp_ieee_invalid_op 0
		.amdhsa_exception_fp_denorm_src 0
		.amdhsa_exception_fp_ieee_div_zero 0
		.amdhsa_exception_fp_ieee_overflow 0
		.amdhsa_exception_fp_ieee_underflow 0
		.amdhsa_exception_fp_ieee_inexact 0
		.amdhsa_exception_int_div_zero 0
	.end_amdhsa_kernel
	.section	.text._Z19sort_keys_segmentedILj256ELj32ELj7ELb0EiN10test_utils7greaterEEvPT3_PKjT4_,"axG",@progbits,_Z19sort_keys_segmentedILj256ELj32ELj7ELb0EiN10test_utils7greaterEEvPT3_PKjT4_,comdat
.Lfunc_end0:
	.size	_Z19sort_keys_segmentedILj256ELj32ELj7ELb0EiN10test_utils7greaterEEvPT3_PKjT4_, .Lfunc_end0-_Z19sort_keys_segmentedILj256ELj32ELj7ELb0EiN10test_utils7greaterEEvPT3_PKjT4_
                                        ; -- End function
	.set _Z19sort_keys_segmentedILj256ELj32ELj7ELb0EiN10test_utils7greaterEEvPT3_PKjT4_.num_vgpr, 28
	.set _Z19sort_keys_segmentedILj256ELj32ELj7ELb0EiN10test_utils7greaterEEvPT3_PKjT4_.num_agpr, 0
	.set _Z19sort_keys_segmentedILj256ELj32ELj7ELb0EiN10test_utils7greaterEEvPT3_PKjT4_.numbered_sgpr, 14
	.set _Z19sort_keys_segmentedILj256ELj32ELj7ELb0EiN10test_utils7greaterEEvPT3_PKjT4_.num_named_barrier, 0
	.set _Z19sort_keys_segmentedILj256ELj32ELj7ELb0EiN10test_utils7greaterEEvPT3_PKjT4_.private_seg_size, 0
	.set _Z19sort_keys_segmentedILj256ELj32ELj7ELb0EiN10test_utils7greaterEEvPT3_PKjT4_.uses_vcc, 1
	.set _Z19sort_keys_segmentedILj256ELj32ELj7ELb0EiN10test_utils7greaterEEvPT3_PKjT4_.uses_flat_scratch, 0
	.set _Z19sort_keys_segmentedILj256ELj32ELj7ELb0EiN10test_utils7greaterEEvPT3_PKjT4_.has_dyn_sized_stack, 0
	.set _Z19sort_keys_segmentedILj256ELj32ELj7ELb0EiN10test_utils7greaterEEvPT3_PKjT4_.has_recursion, 0
	.set _Z19sort_keys_segmentedILj256ELj32ELj7ELb0EiN10test_utils7greaterEEvPT3_PKjT4_.has_indirect_call, 0
	.section	.AMDGPU.csdata,"",@progbits
; Kernel info:
; codeLenInByte = 8284
; TotalNumSgprs: 16
; NumVgprs: 28
; ScratchSize: 0
; MemoryBound: 0
; FloatMode: 240
; IeeeMode: 1
; LDSByteSize: 7200 bytes/workgroup (compile time only)
; SGPRBlocks: 0
; VGPRBlocks: 1
; NumSGPRsForWavesPerEU: 16
; NumVGPRsForWavesPerEU: 28
; NamedBarCnt: 0
; Occupancy: 16
; WaveLimiterHint : 0
; COMPUTE_PGM_RSRC2:SCRATCH_EN: 0
; COMPUTE_PGM_RSRC2:USER_SGPR: 2
; COMPUTE_PGM_RSRC2:TRAP_HANDLER: 0
; COMPUTE_PGM_RSRC2:TGID_X_EN: 1
; COMPUTE_PGM_RSRC2:TGID_Y_EN: 0
; COMPUTE_PGM_RSRC2:TGID_Z_EN: 0
; COMPUTE_PGM_RSRC2:TIDIG_COMP_CNT: 0
	.section	.text._Z19sort_keys_segmentedILj256ELj8ELj4ELb1ExN10test_utils4lessEEvPT3_PKjT4_,"axG",@progbits,_Z19sort_keys_segmentedILj256ELj8ELj4ELb1ExN10test_utils4lessEEvPT3_PKjT4_,comdat
	.protected	_Z19sort_keys_segmentedILj256ELj8ELj4ELb1ExN10test_utils4lessEEvPT3_PKjT4_ ; -- Begin function _Z19sort_keys_segmentedILj256ELj8ELj4ELb1ExN10test_utils4lessEEvPT3_PKjT4_
	.globl	_Z19sort_keys_segmentedILj256ELj8ELj4ELb1ExN10test_utils4lessEEvPT3_PKjT4_
	.p2align	8
	.type	_Z19sort_keys_segmentedILj256ELj8ELj4ELb1ExN10test_utils4lessEEvPT3_PKjT4_,@function
_Z19sort_keys_segmentedILj256ELj8ELj4ELb1ExN10test_utils4lessEEvPT3_PKjT4_: ; @_Z19sort_keys_segmentedILj256ELj8ELj4ELb1ExN10test_utils4lessEEvPT3_PKjT4_
; %bb.0:
	s_load_b128 s[0:3], s[0:1], 0x0
	s_bfe_u32 s4, ttmp6, 0x4000c
	s_and_b32 s5, ttmp6, 15
	s_add_co_i32 s4, s4, 1
	s_getreg_b32 s6, hwreg(HW_REG_IB_STS2, 6, 4)
	s_mul_i32 s4, ttmp9, s4
	v_mbcnt_lo_u32_b32 v1, -1, 0
	v_lshrrev_b32_e32 v16, 3, v0
	s_add_co_i32 s5, s5, s4
	s_cmp_eq_u32 s6, 0
	s_cselect_b32 s4, ttmp9, s5
	v_lshlrev_b32_e32 v22, 2, v1
	v_lshl_or_b32 v0, s4, 5, v16
	s_delay_alu instid0(VALU_DEP_1) | instskip(NEXT) | instid1(VALU_DEP_1)
	v_dual_mov_b32 v3, 0 :: v_dual_lshlrev_b32 v2, 5, v0
	v_dual_mov_b32 v8, v3 :: v_dual_bitop2_b32 v19, 28, v22 bitop3:0x40
	s_wait_kmcnt 0x0
	global_load_b32 v18, v0, s[2:3] scale_offset
	v_mov_b32_e32 v5, v3
	s_wait_xcnt 0x0
	v_lshl_add_u64 v[0:1], v[2:3], 3, s[0:1]
	v_dual_mov_b32 v9, v3 :: v_dual_lshlrev_b32 v2, 3, v19
	v_dual_mov_b32 v4, v3 :: v_dual_mov_b32 v10, v3
	v_mov_b32_e32 v11, v3
	s_delay_alu instid0(VALU_DEP_3)
	v_add_nc_u64_e32 v[0:1], v[0:1], v[2:3]
	v_dual_mov_b32 v6, v3 :: v_dual_mov_b32 v7, v3
	s_wait_loadcnt 0x0
	v_cmp_lt_u32_e32 vcc_lo, v19, v18
	s_and_saveexec_b32 s0, vcc_lo
	s_cbranch_execz .LBB1_2
; %bb.1:
	global_load_b64 v[8:9], v[0:1], off
	v_dual_mov_b32 v4, v3 :: v_dual_mov_b32 v5, v3
	v_dual_mov_b32 v10, v3 :: v_dual_mov_b32 v11, v3
	;; [unrolled: 1-line block ×3, first 2 shown]
.LBB1_2:
	s_wait_xcnt 0x0
	s_or_b32 exec_lo, exec_lo, s0
	v_or_b32_e32 v3, 1, v19
	s_delay_alu instid0(VALU_DEP_1)
	v_cmp_lt_u32_e64 s0, v3, v18
	s_and_saveexec_b32 s1, s0
	s_cbranch_execz .LBB1_4
; %bb.3:
	global_load_b64 v[4:5], v[0:1], off offset:8
.LBB1_4:
	s_wait_xcnt 0x0
	s_or_b32 exec_lo, exec_lo, s1
	v_or_b32_e32 v12, 2, v19
	s_delay_alu instid0(VALU_DEP_1)
	v_cmp_lt_u32_e64 s1, v12, v18
	s_and_saveexec_b32 s2, s1
	s_cbranch_execz .LBB1_6
; %bb.5:
	global_load_b64 v[10:11], v[0:1], off offset:16
.LBB1_6:
	;; [unrolled: 10-line block ×3, first 2 shown]
	s_wait_xcnt 0x0
	s_or_b32 exec_lo, exec_lo, s3
	v_cmp_lt_i32_e64 s3, v12, v18
	v_cmp_lt_i32_e64 s4, v13, v18
	;; [unrolled: 1-line block ×3, first 2 shown]
	s_mov_b32 s7, exec_lo
	s_or_b32 s3, s4, s3
	s_wait_loadcnt 0x0
	v_cndmask_b32_e64 v7, 0x7fffffff, v7, s4
	v_cndmask_b32_e64 v11, 0x7fffffff, v11, s3
	v_cndmask_b32_e64 v10, -1, v10, s3
	s_or_b32 s3, s3, s5
	v_cndmask_b32_e64 v6, -1, v6, s4
	v_cndmask_b32_e64 v5, 0x7fffffff, v5, s3
	v_cndmask_b32_e64 v4, -1, v4, s3
	v_cmpx_lt_i32_e64 v19, v18
	s_cbranch_execz .LBB1_12
; %bb.9:
	s_delay_alu instid0(VALU_DEP_2)
	v_max_i64 v[12:13], v[4:5], v[8:9]
	v_min_i64 v[14:15], v[6:7], v[10:11]
	v_min_i64 v[20:21], v[4:5], v[8:9]
	v_max_i64 v[24:25], v[6:7], v[10:11]
	v_cmp_lt_i64_e64 s3, v[6:7], v[10:11]
	v_cmp_lt_i64_e64 s4, v[4:5], v[8:9]
	s_delay_alu instid0(VALU_DEP_2) | instskip(NEXT) | instid1(VALU_DEP_2)
	v_cndmask_b32_e64 v3, v6, v10, s3
	v_dual_cndmask_b32 v6, v10, v6, s3 :: v_dual_cndmask_b32 v17, v5, v9, s4
	v_cndmask_b32_e64 v10, v8, v4, s4
	v_dual_cndmask_b32 v4, v4, v8, s4 :: v_dual_cndmask_b32 v8, v11, v7, s3
	v_dual_cndmask_b32 v9, v9, v5, s4 :: v_dual_cndmask_b32 v7, v7, v11, s3
	v_min_i64 v[26:27], v[14:15], v[12:13]
	v_max_i64 v[28:29], v[14:15], v[12:13]
	v_cmp_lt_i64_e64 s5, v[14:15], v[12:13]
	v_cmp_lt_i64_e64 s6, v[14:15], v[20:21]
	v_cmp_gt_i64_e64 s3, v[12:13], v[24:25]
	s_delay_alu instid0(VALU_DEP_3) | instskip(SKIP_1) | instid1(VALU_DEP_2)
	v_dual_cndmask_b32 v23, v6, v12, s5 :: v_dual_cndmask_b32 v6, v17, v15, s5
	v_cndmask_b32_e64 v11, v8, v13, s5
	v_dual_cndmask_b32 v4, v4, v14, s5 :: v_dual_cndmask_b32 v5, v6, v21, s6
	s_delay_alu instid0(VALU_DEP_1)
	v_dual_cndmask_b32 v4, v4, v20, s6 :: v_dual_cndmask_b32 v13, v27, v21, s6
	v_cndmask_b32_e64 v14, v28, v24, s3
	v_dual_cndmask_b32 v12, v26, v20, s6 :: v_dual_cndmask_b32 v7, v7, v29, s3
	v_dual_cndmask_b32 v15, v29, v25, s3 :: v_dual_cndmask_b32 v8, v10, v26, s6
	;; [unrolled: 1-line block ×3, first 2 shown]
	v_cndmask_b32_e64 v11, v11, v25, s3
	v_cndmask_b32_e64 v10, v23, v24, s3
	s_mov_b32 s3, exec_lo
	v_cmpx_lt_i64_e64 v[14:15], v[12:13]
; %bb.10:
	v_dual_mov_b32 v4, v14 :: v_dual_mov_b32 v5, v15
	v_dual_mov_b32 v10, v12 :: v_dual_mov_b32 v11, v13
; %bb.11:
	s_or_b32 exec_lo, exec_lo, s3
.LBB1_12:
	s_delay_alu instid0(SALU_CYCLE_1)
	s_or_b32 exec_lo, exec_lo, s7
	v_and_b32_e32 v3, 24, v22
	v_mul_u32_u24_e32 v20, 0x108, v16
	v_mad_u32_u24 v21, 0x108, v16, v2
	s_mov_b32 s5, 0
	s_mov_b32 s4, exec_lo
	v_min_i32_e32 v12, v18, v3
	; wave barrier
	ds_store_2addr_b64 v21, v[8:9], v[4:5] offset1:1
	ds_store_2addr_b64 v21, v[10:11], v[6:7] offset0:2 offset1:3
	v_add_min_i32_e64 v26, v12, 4, v18
	; wave barrier
	s_delay_alu instid0(VALU_DEP_1) | instskip(NEXT) | instid1(VALU_DEP_1)
	v_add_min_i32_e64 v23, v26, 4, v18
	v_sub_nc_u32_e32 v13, v23, v26
	v_dual_lshlrev_b32 v17, 3, v12 :: v_dual_bitop2_b32 v3, 4, v22 bitop3:0x40
	v_sub_nc_u32_e32 v14, v26, v12
	s_delay_alu instid0(VALU_DEP_2) | instskip(NEXT) | instid1(VALU_DEP_3)
	v_min_i32_e32 v3, v18, v3
	v_mad_u32_u24 v2, 0x108, v16, v17
	s_delay_alu instid0(VALU_DEP_2) | instskip(SKIP_1) | instid1(VALU_DEP_1)
	v_dual_sub_nc_u32 v15, v3, v13 :: v_dual_min_i32 v14, v3, v14
	v_cmp_ge_i32_e64 s3, v3, v13
	v_cndmask_b32_e64 v13, 0, v15, s3
	s_delay_alu instid0(VALU_DEP_1)
	v_cmpx_lt_i32_e64 v13, v14
	s_cbranch_execz .LBB1_16
; %bb.13:
	v_dual_lshlrev_b32 v4, 3, v26 :: v_dual_lshlrev_b32 v5, 3, v3
	s_delay_alu instid0(VALU_DEP_1)
	v_add3_u32 v4, v20, v4, v5
.LBB1_14:                               ; =>This Inner Loop Header: Depth=1
	v_sub_nc_u32_e32 v5, v14, v13
	s_delay_alu instid0(VALU_DEP_1) | instskip(NEXT) | instid1(VALU_DEP_1)
	v_lshrrev_b32_e32 v5, 1, v5
	v_add_nc_u32_e32 v5, v5, v13
	s_delay_alu instid0(VALU_DEP_1) | instskip(SKIP_1) | instid1(VALU_DEP_2)
	v_not_b32_e32 v6, v5
	v_lshl_add_u32 v7, v5, 3, v2
	v_lshl_add_u32 v8, v6, 3, v4
	ds_load_b64 v[6:7], v7
	ds_load_b64 v[8:9], v8
	s_wait_dscnt 0x0
	v_cmp_lt_i64_e64 s3, v[8:9], v[6:7]
	v_add_nc_u32_e32 v6, 1, v5
	s_delay_alu instid0(VALU_DEP_1) | instskip(SKIP_1) | instid1(VALU_DEP_1)
	v_cndmask_b32_e64 v13, v6, v13, s3
	v_cndmask_b32_e64 v14, v14, v5, s3
	v_cmp_ge_i32_e64 s3, v13, v14
	s_or_b32 s5, s3, s5
	s_delay_alu instid0(SALU_CYCLE_1)
	s_and_not1_b32 exec_lo, exec_lo, s5
	s_cbranch_execnz .LBB1_14
; %bb.15:
	s_or_b32 exec_lo, exec_lo, s5
.LBB1_16:
	s_delay_alu instid0(SALU_CYCLE_1) | instskip(SKIP_2) | instid1(VALU_DEP_2)
	s_or_b32 exec_lo, exec_lo, s4
	v_dual_add_nc_u32 v3, v26, v3 :: v_dual_add_nc_u32 v11, v13, v12
	v_lshl_add_u32 v8, v13, 3, v2
                                        ; implicit-def: $vgpr6_vgpr7
	v_sub_nc_u32_e32 v10, v3, v13
	s_delay_alu instid0(VALU_DEP_3) | instskip(NEXT) | instid1(VALU_DEP_2)
	v_cmp_le_i32_e64 s4, v26, v11
	v_lshl_add_u32 v14, v10, 3, v20
	v_cmp_gt_i32_e64 s5, v23, v10
	ds_load_b64 v[2:3], v8
	ds_load_b64 v[4:5], v14
	s_wait_dscnt 0x0
	v_cmp_lt_i64_e64 s3, v[4:5], v[2:3]
	s_or_b32 s3, s4, s3
	s_delay_alu instid0(SALU_CYCLE_1) | instskip(NEXT) | instid1(SALU_CYCLE_1)
	s_and_b32 s3, s5, s3
	s_xor_b32 s4, s3, -1
	s_delay_alu instid0(SALU_CYCLE_1) | instskip(NEXT) | instid1(SALU_CYCLE_1)
	s_and_saveexec_b32 s5, s4
	s_xor_b32 s4, exec_lo, s5
; %bb.17:
	ds_load_b64 v[6:7], v8 offset:8
                                        ; implicit-def: $vgpr14
; %bb.18:
	s_or_saveexec_b32 s4, s4
	v_mov_b64_e32 v[8:9], v[4:5]
	s_xor_b32 exec_lo, exec_lo, s4
	s_cbranch_execz .LBB1_20
; %bb.19:
	ds_load_b64 v[8:9], v14 offset:8
	s_wait_dscnt 0x1
	v_mov_b64_e32 v[6:7], v[2:3]
.LBB1_20:
	s_or_b32 exec_lo, exec_lo, s4
	v_dual_add_nc_u32 v12, 1, v11 :: v_dual_add_nc_u32 v14, 1, v10
	s_wait_dscnt 0x0
	s_delay_alu instid0(VALU_DEP_2) | instskip(NEXT) | instid1(VALU_DEP_2)
	v_cmp_lt_i64_e64 s4, v[8:9], v[6:7]
	v_dual_cndmask_b32 v13, v12, v11, s3 :: v_dual_cndmask_b32 v12, v10, v14, s3
                                        ; implicit-def: $vgpr10_vgpr11
	s_delay_alu instid0(VALU_DEP_1) | instskip(NEXT) | instid1(VALU_DEP_2)
	v_cmp_ge_i32_e64 s5, v13, v26
	v_cmp_lt_i32_e64 s6, v12, v23
	s_or_b32 s4, s5, s4
	s_delay_alu instid0(SALU_CYCLE_1) | instskip(NEXT) | instid1(SALU_CYCLE_1)
	s_and_b32 s4, s6, s4
	s_xor_b32 s5, s4, -1
	s_delay_alu instid0(SALU_CYCLE_1) | instskip(NEXT) | instid1(SALU_CYCLE_1)
	s_and_saveexec_b32 s6, s5
	s_xor_b32 s5, exec_lo, s6
; %bb.21:
	v_lshl_add_u32 v10, v13, 3, v20
	ds_load_b64 v[10:11], v10 offset:8
; %bb.22:
	s_or_saveexec_b32 s5, s5
	v_mov_b64_e32 v[14:15], v[8:9]
	s_xor_b32 exec_lo, exec_lo, s5
	s_cbranch_execz .LBB1_24
; %bb.23:
	s_wait_dscnt 0x0
	v_lshl_add_u32 v10, v12, 3, v20
	ds_load_b64 v[14:15], v10 offset:8
	v_mov_b64_e32 v[10:11], v[6:7]
.LBB1_24:
	s_or_b32 exec_lo, exec_lo, s5
	v_dual_add_nc_u32 v16, 1, v13 :: v_dual_add_nc_u32 v17, 1, v12
	s_wait_dscnt 0x0
	s_delay_alu instid0(VALU_DEP_2) | instskip(NEXT) | instid1(VALU_DEP_2)
	v_cmp_lt_i64_e64 s5, v[14:15], v[10:11]
	v_cndmask_b32_e64 v29, v16, v13, s4
	s_delay_alu instid0(VALU_DEP_3) | instskip(NEXT) | instid1(VALU_DEP_2)
	v_cndmask_b32_e64 v28, v12, v17, s4
                                        ; implicit-def: $vgpr12_vgpr13
	v_cmp_ge_i32_e64 s6, v29, v26
	s_delay_alu instid0(VALU_DEP_2) | instskip(SKIP_1) | instid1(SALU_CYCLE_1)
	v_cmp_lt_i32_e64 s7, v28, v23
	s_or_b32 s5, s6, s5
	s_and_b32 s5, s7, s5
	s_delay_alu instid0(SALU_CYCLE_1) | instskip(NEXT) | instid1(SALU_CYCLE_1)
	s_xor_b32 s6, s5, -1
	s_and_saveexec_b32 s7, s6
	s_delay_alu instid0(SALU_CYCLE_1)
	s_xor_b32 s6, exec_lo, s7
; %bb.25:
	v_lshl_add_u32 v12, v29, 3, v20
	ds_load_b64 v[12:13], v12 offset:8
; %bb.26:
	s_or_saveexec_b32 s6, s6
	v_mov_b64_e32 v[16:17], v[14:15]
	s_xor_b32 exec_lo, exec_lo, s6
	s_cbranch_execz .LBB1_28
; %bb.27:
	s_wait_dscnt 0x0
	v_lshl_add_u32 v12, v28, 3, v20
	ds_load_b64 v[16:17], v12 offset:8
	v_mov_b64_e32 v[12:13], v[10:11]
.LBB1_28:
	s_or_b32 exec_lo, exec_lo, s6
	v_dual_cndmask_b32 v11, v11, v15, s5 :: v_dual_bitop2_b32 v24, 16, v22 bitop3:0x40
	v_dual_cndmask_b32 v10, v10, v14, s5 :: v_dual_add_nc_u32 v30, 1, v28
	v_dual_cndmask_b32 v15, v3, v5, s3 :: v_dual_bitop2_b32 v3, 12, v22 bitop3:0x40
	s_delay_alu instid0(VALU_DEP_3)
	v_dual_add_nc_u32 v31, 1, v29 :: v_dual_min_i32 v27, v18, v24
	v_cndmask_b32_e64 v14, v2, v4, s3
	s_wait_dscnt 0x0
	v_cmp_lt_i64_e64 s3, v[16:17], v[12:13]
	v_dual_cndmask_b32 v9, v7, v9, s4 :: v_dual_cndmask_b32 v8, v6, v8, s4
	v_add_min_i32_e64 v25, v27, 8, v18
	v_dual_cndmask_b32 v4, v31, v29, s5 :: v_dual_cndmask_b32 v5, v28, v30, s5
	; wave barrier
	s_delay_alu instid0(VALU_DEP_2) | instskip(SKIP_1) | instid1(VALU_DEP_3)
	v_add_min_i32_e64 v24, v25, 8, v18
	v_min_i32_e32 v2, v18, v3
	v_cmp_ge_i32_e64 s4, v4, v26
	v_sub_nc_u32_e32 v4, v25, v27
	v_cmp_lt_i32_e64 s5, v5, v23
	v_sub_nc_u32_e32 v3, v24, v25
	s_or_b32 s4, s4, s3
	s_delay_alu instid0(VALU_DEP_1) | instskip(SKIP_2) | instid1(VALU_DEP_2)
	v_dual_sub_nc_u32 v6, v2, v3 :: v_dual_min_i32 v4, v2, v4
	v_cmp_ge_i32_e64 s3, v2, v3
	v_lshl_add_u32 v3, v27, 3, v20
	v_cndmask_b32_e64 v6, 0, v6, s3
	s_and_b32 s3, s5, s4
	s_mov_b32 s5, 0
	v_dual_cndmask_b32 v13, v13, v17, s3 :: v_dual_cndmask_b32 v12, v12, v16, s3
	s_mov_b32 s4, exec_lo
	ds_store_2addr_b64 v21, v[14:15], v[8:9] offset1:1
	ds_store_2addr_b64 v21, v[10:11], v[12:13] offset0:2 offset1:3
	; wave barrier
	v_cmpx_lt_i32_e64 v6, v4
	s_cbranch_execz .LBB1_32
; %bb.29:
	v_dual_lshlrev_b32 v5, 3, v25 :: v_dual_lshlrev_b32 v7, 3, v2
	s_delay_alu instid0(VALU_DEP_1)
	v_add3_u32 v5, v20, v5, v7
.LBB1_30:                               ; =>This Inner Loop Header: Depth=1
	v_sub_nc_u32_e32 v7, v4, v6
	s_delay_alu instid0(VALU_DEP_1) | instskip(NEXT) | instid1(VALU_DEP_1)
	v_lshrrev_b32_e32 v7, 1, v7
	v_add_nc_u32_e32 v7, v7, v6
	s_delay_alu instid0(VALU_DEP_1) | instskip(SKIP_1) | instid1(VALU_DEP_2)
	v_not_b32_e32 v8, v7
	v_lshl_add_u32 v9, v7, 3, v3
	v_lshl_add_u32 v10, v8, 3, v5
	ds_load_b64 v[8:9], v9
	ds_load_b64 v[10:11], v10
	s_wait_dscnt 0x0
	v_cmp_lt_i64_e64 s3, v[10:11], v[8:9]
	s_delay_alu instid0(VALU_DEP_1) | instskip(NEXT) | instid1(VALU_DEP_1)
	v_dual_add_nc_u32 v8, 1, v7 :: v_dual_cndmask_b32 v4, v4, v7, s3
	v_cndmask_b32_e64 v6, v8, v6, s3
	s_delay_alu instid0(VALU_DEP_1) | instskip(SKIP_1) | instid1(SALU_CYCLE_1)
	v_cmp_ge_i32_e64 s3, v6, v4
	s_or_b32 s5, s3, s5
	s_and_not1_b32 exec_lo, exec_lo, s5
	s_cbranch_execnz .LBB1_30
; %bb.31:
	s_or_b32 exec_lo, exec_lo, s5
.LBB1_32:
	s_delay_alu instid0(SALU_CYCLE_1) | instskip(SKIP_2) | instid1(VALU_DEP_2)
	s_or_b32 exec_lo, exec_lo, s4
	v_dual_add_nc_u32 v2, v25, v2 :: v_dual_add_nc_u32 v11, v6, v27
	v_lshl_add_u32 v8, v6, 3, v3
	v_sub_nc_u32_e32 v10, v2, v6
	s_delay_alu instid0(VALU_DEP_3) | instskip(NEXT) | instid1(VALU_DEP_2)
	v_cmp_le_i32_e64 s4, v25, v11
                                        ; implicit-def: $vgpr6_vgpr7
	v_lshl_add_u32 v12, v10, 3, v20
	v_cmp_gt_i32_e64 s5, v24, v10
	ds_load_b64 v[2:3], v8
	ds_load_b64 v[4:5], v12
	s_wait_dscnt 0x0
	v_cmp_lt_i64_e64 s3, v[4:5], v[2:3]
	s_or_b32 s3, s4, s3
	s_delay_alu instid0(SALU_CYCLE_1) | instskip(NEXT) | instid1(SALU_CYCLE_1)
	s_and_b32 s3, s5, s3
	s_xor_b32 s4, s3, -1
	s_delay_alu instid0(SALU_CYCLE_1) | instskip(NEXT) | instid1(SALU_CYCLE_1)
	s_and_saveexec_b32 s5, s4
	s_xor_b32 s4, exec_lo, s5
; %bb.33:
	ds_load_b64 v[6:7], v8 offset:8
                                        ; implicit-def: $vgpr12
; %bb.34:
	s_or_saveexec_b32 s4, s4
	v_mov_b64_e32 v[8:9], v[4:5]
	s_xor_b32 exec_lo, exec_lo, s4
	s_cbranch_execz .LBB1_36
; %bb.35:
	ds_load_b64 v[8:9], v12 offset:8
	s_wait_dscnt 0x1
	v_mov_b64_e32 v[6:7], v[2:3]
.LBB1_36:
	s_or_b32 exec_lo, exec_lo, s4
	v_dual_add_nc_u32 v12, 1, v11 :: v_dual_add_nc_u32 v13, 1, v10
	s_wait_dscnt 0x0
	s_delay_alu instid0(VALU_DEP_2) | instskip(NEXT) | instid1(VALU_DEP_2)
	v_cmp_lt_i64_e64 s4, v[8:9], v[6:7]
	v_dual_cndmask_b32 v15, v12, v11, s3 :: v_dual_cndmask_b32 v14, v10, v13, s3
                                        ; implicit-def: $vgpr10_vgpr11
	s_delay_alu instid0(VALU_DEP_1) | instskip(NEXT) | instid1(VALU_DEP_2)
	v_cmp_ge_i32_e64 s5, v15, v25
	v_cmp_lt_i32_e64 s6, v14, v24
	s_or_b32 s4, s5, s4
	s_delay_alu instid0(SALU_CYCLE_1) | instskip(NEXT) | instid1(SALU_CYCLE_1)
	s_and_b32 s4, s6, s4
	s_xor_b32 s5, s4, -1
	s_delay_alu instid0(SALU_CYCLE_1) | instskip(NEXT) | instid1(SALU_CYCLE_1)
	s_and_saveexec_b32 s6, s5
	s_xor_b32 s5, exec_lo, s6
; %bb.37:
	v_lshl_add_u32 v10, v15, 3, v20
	ds_load_b64 v[10:11], v10 offset:8
; %bb.38:
	s_or_saveexec_b32 s5, s5
	v_mov_b64_e32 v[12:13], v[8:9]
	s_xor_b32 exec_lo, exec_lo, s5
	s_cbranch_execz .LBB1_40
; %bb.39:
	s_wait_dscnt 0x0
	v_lshl_add_u32 v10, v14, 3, v20
	ds_load_b64 v[12:13], v10 offset:8
	v_mov_b64_e32 v[10:11], v[6:7]
.LBB1_40:
	s_or_b32 exec_lo, exec_lo, s5
	v_dual_add_nc_u32 v16, 1, v15 :: v_dual_add_nc_u32 v17, 1, v14
	s_wait_dscnt 0x0
	s_delay_alu instid0(VALU_DEP_2) | instskip(NEXT) | instid1(VALU_DEP_2)
	v_cmp_lt_i64_e64 s5, v[12:13], v[10:11]
	v_dual_cndmask_b32 v28, v16, v15, s4 :: v_dual_cndmask_b32 v27, v14, v17, s4
                                        ; implicit-def: $vgpr14_vgpr15
	s_delay_alu instid0(VALU_DEP_1) | instskip(NEXT) | instid1(VALU_DEP_2)
	v_cmp_ge_i32_e64 s6, v28, v25
	v_cmp_lt_i32_e64 s7, v27, v24
	s_or_b32 s5, s6, s5
	s_delay_alu instid0(SALU_CYCLE_1) | instskip(NEXT) | instid1(SALU_CYCLE_1)
	s_and_b32 s5, s7, s5
	s_xor_b32 s6, s5, -1
	s_delay_alu instid0(SALU_CYCLE_1) | instskip(NEXT) | instid1(SALU_CYCLE_1)
	s_and_saveexec_b32 s7, s6
	s_xor_b32 s6, exec_lo, s7
; %bb.41:
	v_lshl_add_u32 v14, v28, 3, v20
	ds_load_b64 v[14:15], v14 offset:8
; %bb.42:
	s_or_saveexec_b32 s6, s6
	v_mov_b64_e32 v[16:17], v[12:13]
	s_xor_b32 exec_lo, exec_lo, s6
	s_cbranch_execz .LBB1_44
; %bb.43:
	s_wait_dscnt 0x0
	v_lshl_add_u32 v14, v27, 3, v20
	ds_load_b64 v[16:17], v14 offset:8
	v_mov_b64_e32 v[14:15], v[10:11]
.LBB1_44:
	s_or_b32 exec_lo, exec_lo, s6
	v_dual_cndmask_b32 v11, v11, v13, s5 :: v_dual_min_i32 v26, 0, v18
	v_dual_add_nc_u32 v30, 1, v28 :: v_dual_cndmask_b32 v9, v7, v9, s4
	v_dual_cndmask_b32 v10, v10, v12, s5 :: v_dual_add_nc_u32 v29, 1, v27
	s_delay_alu instid0(VALU_DEP_3) | instskip(SKIP_1) | instid1(VALU_DEP_4)
	v_add_min_i32_e64 v22, v26, 16, v18
	v_dual_cndmask_b32 v8, v6, v8, s4 :: v_dual_cndmask_b32 v13, v3, v5, s3
	v_cndmask_b32_e64 v3, v30, v28, s5
	s_delay_alu instid0(VALU_DEP_3)
	v_add_min_i32_e64 v23, v22, 16, v18
	v_cndmask_b32_e64 v12, v2, v4, s3
	s_wait_dscnt 0x0
	v_cmp_lt_i64_e64 s3, v[16:17], v[14:15]
	v_dual_cndmask_b32 v4, v27, v29, s5 :: v_dual_min_i32 v2, v18, v19
	v_sub_nc_u32_e32 v5, v23, v22
	v_cmp_ge_i32_e64 s4, v3, v25
	; wave barrier
	s_delay_alu instid0(VALU_DEP_3) | instskip(NEXT) | instid1(VALU_DEP_3)
	v_cmp_lt_i32_e64 s5, v4, v24
	v_sub_nc_u32_e32 v6, v2, v5
	s_or_b32 s4, s4, s3
	v_cmp_ge_i32_e64 s3, v2, v5
	s_delay_alu instid0(VALU_DEP_1) | instskip(SKIP_1) | instid1(SALU_CYCLE_1)
	v_cndmask_b32_e64 v6, 0, v6, s3
	s_and_b32 s3, s5, s4
	v_dual_sub_nc_u32 v3, v22, v26 :: v_dual_cndmask_b32 v15, v15, v17, s3
	v_cndmask_b32_e64 v14, v14, v16, s3
	s_mov_b32 s5, 0
	s_mov_b32 s4, exec_lo
	s_delay_alu instid0(VALU_DEP_2)
	v_min_i32_e32 v4, v2, v3
	v_lshl_add_u32 v3, v26, 3, v20
	ds_store_2addr_b64 v21, v[12:13], v[8:9] offset1:1
	ds_store_2addr_b64 v21, v[10:11], v[14:15] offset0:2 offset1:3
	; wave barrier
	v_cmpx_lt_i32_e64 v6, v4
	s_cbranch_execz .LBB1_48
; %bb.45:
	v_lshlrev_b32_e32 v5, 3, v22
	v_lshlrev_b32_e32 v7, 3, v2
	s_delay_alu instid0(VALU_DEP_1)
	v_add3_u32 v5, v20, v5, v7
.LBB1_46:                               ; =>This Inner Loop Header: Depth=1
	v_sub_nc_u32_e32 v7, v4, v6
	s_delay_alu instid0(VALU_DEP_1) | instskip(NEXT) | instid1(VALU_DEP_1)
	v_lshrrev_b32_e32 v7, 1, v7
	v_add_nc_u32_e32 v7, v7, v6
	s_delay_alu instid0(VALU_DEP_1) | instskip(SKIP_1) | instid1(VALU_DEP_2)
	v_not_b32_e32 v8, v7
	v_lshl_add_u32 v9, v7, 3, v3
	v_lshl_add_u32 v10, v8, 3, v5
	ds_load_b64 v[8:9], v9
	ds_load_b64 v[10:11], v10
	s_wait_dscnt 0x0
	v_cmp_lt_i64_e64 s3, v[10:11], v[8:9]
	s_delay_alu instid0(VALU_DEP_1) | instskip(NEXT) | instid1(VALU_DEP_1)
	v_dual_add_nc_u32 v8, 1, v7 :: v_dual_cndmask_b32 v4, v4, v7, s3
	v_cndmask_b32_e64 v6, v8, v6, s3
	s_delay_alu instid0(VALU_DEP_1) | instskip(SKIP_1) | instid1(SALU_CYCLE_1)
	v_cmp_ge_i32_e64 s3, v6, v4
	s_or_b32 s5, s3, s5
	s_and_not1_b32 exec_lo, exec_lo, s5
	s_cbranch_execnz .LBB1_46
; %bb.47:
	s_or_b32 exec_lo, exec_lo, s5
.LBB1_48:
	s_delay_alu instid0(SALU_CYCLE_1) | instskip(SKIP_3) | instid1(VALU_DEP_3)
	s_or_b32 exec_lo, exec_lo, s4
	v_add_nc_u32_e32 v2, v22, v2
	v_lshl_add_u32 v8, v6, 3, v3
	v_add_nc_u32_e32 v11, v6, v26
	v_sub_nc_u32_e32 v10, v2, v6
                                        ; implicit-def: $vgpr6_vgpr7
	s_delay_alu instid0(VALU_DEP_2) | instskip(NEXT) | instid1(VALU_DEP_2)
	v_cmp_le_i32_e64 s4, v22, v11
	v_lshl_add_u32 v12, v10, 3, v20
	v_cmp_gt_i32_e64 s5, v23, v10
	ds_load_b64 v[2:3], v8
	ds_load_b64 v[4:5], v12
	s_wait_dscnt 0x0
	v_cmp_lt_i64_e64 s3, v[4:5], v[2:3]
	s_or_b32 s3, s4, s3
	s_delay_alu instid0(SALU_CYCLE_1) | instskip(NEXT) | instid1(SALU_CYCLE_1)
	s_and_b32 s3, s5, s3
	s_xor_b32 s4, s3, -1
	s_delay_alu instid0(SALU_CYCLE_1) | instskip(NEXT) | instid1(SALU_CYCLE_1)
	s_and_saveexec_b32 s5, s4
	s_xor_b32 s4, exec_lo, s5
; %bb.49:
	ds_load_b64 v[6:7], v8 offset:8
                                        ; implicit-def: $vgpr12
; %bb.50:
	s_or_saveexec_b32 s4, s4
	v_mov_b64_e32 v[8:9], v[4:5]
	s_xor_b32 exec_lo, exec_lo, s4
	s_cbranch_execz .LBB1_52
; %bb.51:
	ds_load_b64 v[8:9], v12 offset:8
	s_wait_dscnt 0x1
	v_mov_b64_e32 v[6:7], v[2:3]
.LBB1_52:
	s_or_b32 exec_lo, exec_lo, s4
	v_dual_add_nc_u32 v12, 1, v11 :: v_dual_add_nc_u32 v13, 1, v10
	s_wait_dscnt 0x0
	s_delay_alu instid0(VALU_DEP_2) | instskip(NEXT) | instid1(VALU_DEP_2)
	v_cmp_lt_i64_e64 s4, v[8:9], v[6:7]
	v_dual_cndmask_b32 v15, v12, v11, s3 :: v_dual_cndmask_b32 v14, v10, v13, s3
                                        ; implicit-def: $vgpr10_vgpr11
	s_delay_alu instid0(VALU_DEP_1) | instskip(NEXT) | instid1(VALU_DEP_2)
	v_cmp_ge_i32_e64 s5, v15, v22
	v_cmp_lt_i32_e64 s6, v14, v23
	s_or_b32 s4, s5, s4
	s_delay_alu instid0(SALU_CYCLE_1) | instskip(NEXT) | instid1(SALU_CYCLE_1)
	s_and_b32 s4, s6, s4
	s_xor_b32 s5, s4, -1
	s_delay_alu instid0(SALU_CYCLE_1) | instskip(NEXT) | instid1(SALU_CYCLE_1)
	s_and_saveexec_b32 s6, s5
	s_xor_b32 s5, exec_lo, s6
; %bb.53:
	v_lshl_add_u32 v10, v15, 3, v20
	ds_load_b64 v[10:11], v10 offset:8
; %bb.54:
	s_or_saveexec_b32 s5, s5
	v_mov_b64_e32 v[12:13], v[8:9]
	s_xor_b32 exec_lo, exec_lo, s5
	s_cbranch_execz .LBB1_56
; %bb.55:
	s_wait_dscnt 0x0
	v_lshl_add_u32 v10, v14, 3, v20
	ds_load_b64 v[12:13], v10 offset:8
	v_mov_b64_e32 v[10:11], v[6:7]
.LBB1_56:
	s_or_b32 exec_lo, exec_lo, s5
	v_dual_add_nc_u32 v16, 1, v15 :: v_dual_add_nc_u32 v17, 1, v14
	s_wait_dscnt 0x0
	s_delay_alu instid0(VALU_DEP_2) | instskip(NEXT) | instid1(VALU_DEP_2)
	v_cmp_lt_i64_e64 s5, v[12:13], v[10:11]
                                        ; implicit-def: $vgpr19
	v_dual_cndmask_b32 v21, v16, v15, s4 :: v_dual_cndmask_b32 v18, v14, v17, s4
                                        ; implicit-def: $vgpr14_vgpr15
	s_delay_alu instid0(VALU_DEP_1) | instskip(NEXT) | instid1(VALU_DEP_2)
	v_cmp_ge_i32_e64 s6, v21, v22
	v_cmp_lt_i32_e64 s7, v18, v23
	s_or_b32 s5, s6, s5
	s_delay_alu instid0(SALU_CYCLE_1) | instskip(NEXT) | instid1(SALU_CYCLE_1)
	s_and_b32 s5, s7, s5
	s_xor_b32 s6, s5, -1
	s_delay_alu instid0(SALU_CYCLE_1) | instskip(NEXT) | instid1(SALU_CYCLE_1)
	s_and_saveexec_b32 s7, s6
	s_xor_b32 s6, exec_lo, s7
	s_cbranch_execnz .LBB1_63
; %bb.57:
	s_or_saveexec_b32 s6, s6
	v_mov_b64_e32 v[16:17], v[12:13]
	s_xor_b32 exec_lo, exec_lo, s6
	s_cbranch_execnz .LBB1_64
.LBB1_58:
	s_or_b32 exec_lo, exec_lo, s6
	s_and_saveexec_b32 s6, vcc_lo
	s_cbranch_execnz .LBB1_65
.LBB1_59:
	s_or_b32 exec_lo, exec_lo, s6
	s_and_saveexec_b32 s3, s0
	s_cbranch_execnz .LBB1_66
.LBB1_60:
	s_or_b32 exec_lo, exec_lo, s3
	s_and_saveexec_b32 s0, s1
	s_cbranch_execnz .LBB1_67
.LBB1_61:
	s_or_b32 exec_lo, exec_lo, s0
	s_and_saveexec_b32 s0, s2
	s_cbranch_execnz .LBB1_68
.LBB1_62:
	s_endpgm
.LBB1_63:
	v_lshl_add_u32 v14, v21, 3, v20
	v_add_nc_u32_e32 v19, 1, v21
                                        ; implicit-def: $vgpr20
                                        ; implicit-def: $vgpr21
	ds_load_b64 v[14:15], v14 offset:8
	s_or_saveexec_b32 s6, s6
	v_mov_b64_e32 v[16:17], v[12:13]
	s_xor_b32 exec_lo, exec_lo, s6
	s_cbranch_execz .LBB1_58
.LBB1_64:
	s_wait_dscnt 0x0
	v_lshl_add_u32 v14, v18, 3, v20
	v_dual_mov_b32 v19, v21 :: v_dual_add_nc_u32 v18, 1, v18
	ds_load_b64 v[16:17], v14 offset:8
	v_mov_b64_e32 v[14:15], v[10:11]
	s_or_b32 exec_lo, exec_lo, s6
	s_and_saveexec_b32 s6, vcc_lo
	s_cbranch_execz .LBB1_59
.LBB1_65:
	v_dual_cndmask_b32 v3, v3, v5, s3 :: v_dual_cndmask_b32 v2, v2, v4, s3
	global_store_b64 v[0:1], v[2:3], off
	s_wait_xcnt 0x0
	s_or_b32 exec_lo, exec_lo, s6
	s_and_saveexec_b32 s3, s0
	s_cbranch_execz .LBB1_60
.LBB1_66:
	v_dual_cndmask_b32 v3, v7, v9, s4 :: v_dual_cndmask_b32 v2, v6, v8, s4
	global_store_b64 v[0:1], v[2:3], off offset:8
	s_wait_xcnt 0x0
	s_or_b32 exec_lo, exec_lo, s3
	s_and_saveexec_b32 s0, s1
	s_cbranch_execz .LBB1_61
.LBB1_67:
	v_dual_cndmask_b32 v3, v11, v13, s5 :: v_dual_cndmask_b32 v2, v10, v12, s5
	global_store_b64 v[0:1], v[2:3], off offset:16
	s_wait_xcnt 0x0
	s_or_b32 exec_lo, exec_lo, s0
	s_and_saveexec_b32 s0, s2
	s_cbranch_execz .LBB1_62
.LBB1_68:
	s_wait_dscnt 0x0
	v_cmp_lt_i64_e32 vcc_lo, v[16:17], v[14:15]
	v_cmp_ge_i32_e64 s0, v19, v22
	v_cmp_lt_i32_e64 s1, v18, v23
	s_or_b32 s0, s0, vcc_lo
	s_delay_alu instid0(SALU_CYCLE_1)
	s_and_b32 vcc_lo, s1, s0
	v_dual_cndmask_b32 v3, v15, v17 :: v_dual_cndmask_b32 v2, v14, v16
	global_store_b64 v[0:1], v[2:3], off offset:24
	s_endpgm
	.section	.rodata,"a",@progbits
	.p2align	6, 0x0
	.amdhsa_kernel _Z19sort_keys_segmentedILj256ELj8ELj4ELb1ExN10test_utils4lessEEvPT3_PKjT4_
		.amdhsa_group_segment_fixed_size 8448
		.amdhsa_private_segment_fixed_size 0
		.amdhsa_kernarg_size 20
		.amdhsa_user_sgpr_count 2
		.amdhsa_user_sgpr_dispatch_ptr 0
		.amdhsa_user_sgpr_queue_ptr 0
		.amdhsa_user_sgpr_kernarg_segment_ptr 1
		.amdhsa_user_sgpr_dispatch_id 0
		.amdhsa_user_sgpr_kernarg_preload_length 0
		.amdhsa_user_sgpr_kernarg_preload_offset 0
		.amdhsa_user_sgpr_private_segment_size 0
		.amdhsa_wavefront_size32 1
		.amdhsa_uses_dynamic_stack 0
		.amdhsa_enable_private_segment 0
		.amdhsa_system_sgpr_workgroup_id_x 1
		.amdhsa_system_sgpr_workgroup_id_y 0
		.amdhsa_system_sgpr_workgroup_id_z 0
		.amdhsa_system_sgpr_workgroup_info 0
		.amdhsa_system_vgpr_workitem_id 0
		.amdhsa_next_free_vgpr 32
		.amdhsa_next_free_sgpr 8
		.amdhsa_named_barrier_count 0
		.amdhsa_reserve_vcc 1
		.amdhsa_float_round_mode_32 0
		.amdhsa_float_round_mode_16_64 0
		.amdhsa_float_denorm_mode_32 3
		.amdhsa_float_denorm_mode_16_64 3
		.amdhsa_fp16_overflow 0
		.amdhsa_memory_ordered 1
		.amdhsa_forward_progress 1
		.amdhsa_inst_pref_size 28
		.amdhsa_round_robin_scheduling 0
		.amdhsa_exception_fp_ieee_invalid_op 0
		.amdhsa_exception_fp_denorm_src 0
		.amdhsa_exception_fp_ieee_div_zero 0
		.amdhsa_exception_fp_ieee_overflow 0
		.amdhsa_exception_fp_ieee_underflow 0
		.amdhsa_exception_fp_ieee_inexact 0
		.amdhsa_exception_int_div_zero 0
	.end_amdhsa_kernel
	.section	.text._Z19sort_keys_segmentedILj256ELj8ELj4ELb1ExN10test_utils4lessEEvPT3_PKjT4_,"axG",@progbits,_Z19sort_keys_segmentedILj256ELj8ELj4ELb1ExN10test_utils4lessEEvPT3_PKjT4_,comdat
.Lfunc_end1:
	.size	_Z19sort_keys_segmentedILj256ELj8ELj4ELb1ExN10test_utils4lessEEvPT3_PKjT4_, .Lfunc_end1-_Z19sort_keys_segmentedILj256ELj8ELj4ELb1ExN10test_utils4lessEEvPT3_PKjT4_
                                        ; -- End function
	.set _Z19sort_keys_segmentedILj256ELj8ELj4ELb1ExN10test_utils4lessEEvPT3_PKjT4_.num_vgpr, 32
	.set _Z19sort_keys_segmentedILj256ELj8ELj4ELb1ExN10test_utils4lessEEvPT3_PKjT4_.num_agpr, 0
	.set _Z19sort_keys_segmentedILj256ELj8ELj4ELb1ExN10test_utils4lessEEvPT3_PKjT4_.numbered_sgpr, 8
	.set _Z19sort_keys_segmentedILj256ELj8ELj4ELb1ExN10test_utils4lessEEvPT3_PKjT4_.num_named_barrier, 0
	.set _Z19sort_keys_segmentedILj256ELj8ELj4ELb1ExN10test_utils4lessEEvPT3_PKjT4_.private_seg_size, 0
	.set _Z19sort_keys_segmentedILj256ELj8ELj4ELb1ExN10test_utils4lessEEvPT3_PKjT4_.uses_vcc, 1
	.set _Z19sort_keys_segmentedILj256ELj8ELj4ELb1ExN10test_utils4lessEEvPT3_PKjT4_.uses_flat_scratch, 0
	.set _Z19sort_keys_segmentedILj256ELj8ELj4ELb1ExN10test_utils4lessEEvPT3_PKjT4_.has_dyn_sized_stack, 0
	.set _Z19sort_keys_segmentedILj256ELj8ELj4ELb1ExN10test_utils4lessEEvPT3_PKjT4_.has_recursion, 0
	.set _Z19sort_keys_segmentedILj256ELj8ELj4ELb1ExN10test_utils4lessEEvPT3_PKjT4_.has_indirect_call, 0
	.section	.AMDGPU.csdata,"",@progbits
; Kernel info:
; codeLenInByte = 3480
; TotalNumSgprs: 10
; NumVgprs: 32
; ScratchSize: 0
; MemoryBound: 1
; FloatMode: 240
; IeeeMode: 1
; LDSByteSize: 8448 bytes/workgroup (compile time only)
; SGPRBlocks: 0
; VGPRBlocks: 1
; NumSGPRsForWavesPerEU: 10
; NumVGPRsForWavesPerEU: 32
; NamedBarCnt: 0
; Occupancy: 16
; WaveLimiterHint : 0
; COMPUTE_PGM_RSRC2:SCRATCH_EN: 0
; COMPUTE_PGM_RSRC2:USER_SGPR: 2
; COMPUTE_PGM_RSRC2:TRAP_HANDLER: 0
; COMPUTE_PGM_RSRC2:TGID_X_EN: 1
; COMPUTE_PGM_RSRC2:TGID_Y_EN: 0
; COMPUTE_PGM_RSRC2:TGID_Z_EN: 0
; COMPUTE_PGM_RSRC2:TIDIG_COMP_CNT: 0
	.section	.text._Z19sort_keys_segmentedILj256ELj32ELj8ELb0EN10test_utils16custom_test_typeIfEENS0_4lessEEvPT3_PKjT4_,"axG",@progbits,_Z19sort_keys_segmentedILj256ELj32ELj8ELb0EN10test_utils16custom_test_typeIfEENS0_4lessEEvPT3_PKjT4_,comdat
	.protected	_Z19sort_keys_segmentedILj256ELj32ELj8ELb0EN10test_utils16custom_test_typeIfEENS0_4lessEEvPT3_PKjT4_ ; -- Begin function _Z19sort_keys_segmentedILj256ELj32ELj8ELb0EN10test_utils16custom_test_typeIfEENS0_4lessEEvPT3_PKjT4_
	.globl	_Z19sort_keys_segmentedILj256ELj32ELj8ELb0EN10test_utils16custom_test_typeIfEENS0_4lessEEvPT3_PKjT4_
	.p2align	8
	.type	_Z19sort_keys_segmentedILj256ELj32ELj8ELb0EN10test_utils16custom_test_typeIfEENS0_4lessEEvPT3_PKjT4_,@function
_Z19sort_keys_segmentedILj256ELj32ELj8ELb0EN10test_utils16custom_test_typeIfEENS0_4lessEEvPT3_PKjT4_: ; @_Z19sort_keys_segmentedILj256ELj32ELj8ELb0EN10test_utils16custom_test_typeIfEENS0_4lessEEvPT3_PKjT4_
; %bb.0:
	s_load_b128 s[0:3], s[0:1], 0x0
	s_bfe_u32 s4, ttmp6, 0x4000c
	s_and_b32 s5, ttmp6, 15
	s_add_co_i32 s4, s4, 1
	s_getreg_b32 s6, hwreg(HW_REG_IB_STS2, 6, 4)
	s_mul_i32 s4, ttmp9, s4
	v_dual_mov_b32 v3, 0 :: v_dual_lshrrev_b32 v22, 5, v0
	s_add_co_i32 s5, s5, s4
	s_cmp_eq_u32 s6, 0
	v_mbcnt_lo_u32_b32 v4, -1, 0
	s_cselect_b32 s4, ttmp9, s5
	v_mov_b32_e32 v5, v3
	v_lshl_or_b32 v0, s4, 3, v22
	s_delay_alu instid0(VALU_DEP_3) | instskip(NEXT) | instid1(VALU_DEP_2)
	v_lshlrev_b32_e32 v35, 3, v4
	v_lshlrev_b32_e32 v2, 8, v0
	s_wait_kmcnt 0x0
	global_load_b32 v34, v0, s[2:3] scale_offset
	s_wait_xcnt 0x0
	v_lshl_add_u64 v[0:1], v[2:3], 3, s[0:1]
	v_lshlrev_b32_e32 v2, 6, v4
	s_delay_alu instid0(VALU_DEP_1)
	v_add_nc_u64_e32 v[0:1], v[0:1], v[2:3]
	s_wait_loadcnt 0x0
	v_cmp_lt_u32_e32 vcc_lo, v35, v34
	s_and_saveexec_b32 s0, vcc_lo
	s_cbranch_execz .LBB2_2
; %bb.1:
	global_load_b64 v[4:5], v[0:1], off
	s_wait_loadcnt 0x0
	v_mov_b32_e32 v3, v4
.LBB2_2:
	s_or_b32 exec_lo, exec_lo, s0
	v_or_b32_e32 v6, 1, v35
	v_mov_b64_e32 v[20:21], 0
	s_delay_alu instid0(VALU_DEP_2)
	v_cmp_lt_u32_e64 s0, v6, v34
	s_and_saveexec_b32 s1, s0
	s_cbranch_execz .LBB2_4
; %bb.3:
	global_load_b64 v[20:21], v[0:1], off offset:8
.LBB2_4:
	s_wait_xcnt 0x0
	s_or_b32 exec_lo, exec_lo, s1
	v_dual_mov_b32 v8, 0 :: v_dual_bitop2_b32 v2, 2, v35 bitop3:0x54
	v_dual_mov_b32 v14, 0 :: v_dual_mov_b32 v15, 0
	s_delay_alu instid0(VALU_DEP_2)
	v_cmp_lt_u32_e64 s1, v2, v34
	s_and_saveexec_b32 s2, s1
	s_cbranch_execz .LBB2_6
; %bb.5:
	global_load_b64 v[14:15], v[0:1], off offset:16
.LBB2_6:
	s_wait_xcnt 0x0
	s_or_b32 exec_lo, exec_lo, s2
	v_dual_mov_b32 v9, 0 :: v_dual_bitop2_b32 v28, 3, v35 bitop3:0x54
	s_delay_alu instid0(VALU_DEP_1)
	v_cmp_lt_u32_e64 s2, v28, v34
	s_and_saveexec_b32 s3, s2
	s_cbranch_execz .LBB2_8
; %bb.7:
	global_load_b64 v[8:9], v[0:1], off offset:24
.LBB2_8:
	s_wait_xcnt 0x0
	s_or_b32 exec_lo, exec_lo, s3
	v_dual_mov_b32 v18, 0 :: v_dual_bitop2_b32 v27, 4, v35 bitop3:0x54
	v_dual_mov_b32 v10, 0 :: v_dual_mov_b32 v11, 0
	s_delay_alu instid0(VALU_DEP_2)
	v_cmp_lt_u32_e64 s3, v27, v34
	s_and_saveexec_b32 s4, s3
	s_cbranch_execz .LBB2_10
; %bb.9:
	global_load_b64 v[10:11], v[0:1], off offset:32
.LBB2_10:
	s_wait_xcnt 0x0
	s_or_b32 exec_lo, exec_lo, s4
	v_dual_mov_b32 v19, 0 :: v_dual_bitop2_b32 v26, 5, v35 bitop3:0x54
	s_delay_alu instid0(VALU_DEP_1)
	;; [unrolled: 21-line block ×3, first 2 shown]
	v_cmp_lt_u32_e64 s6, v25, v34
	s_and_saveexec_b32 s7, s6
	s_cbranch_execz .LBB2_16
; %bb.15:
	global_load_b64 v[12:13], v[0:1], off offset:56
.LBB2_16:
	s_wait_xcnt 0x0
	s_or_b32 exec_lo, exec_lo, s7
	s_get_pc_i64 s[10:11]
	s_add_nc_u64 s[10:11], s[10:11], _ZN9sort_lastIN10test_utils4lessENS0_16custom_test_typeIfEEE5valueE@rel64+4
	v_cmp_lt_i32_e64 s7, v6, v34
	s_load_b64 s[8:9], s[10:11], 0x0
	s_wait_kmcnt 0x0
	v_mov_b64_e32 v[6:7], s[8:9]
	v_dual_mov_b32 v23, s8 :: v_dual_mov_b32 v24, s9
	s_and_saveexec_b32 s10, s7
	s_cbranch_execz .LBB2_22
; %bb.17:
	s_mov_b32 s12, -1
	s_mov_b32 s11, exec_lo
	s_wait_loadcnt 0x0
	v_cmpx_nlt_f32_e32 s8, v20
	s_cbranch_execz .LBB2_21
; %bb.18:
	s_mov_b32 s12, 0
	s_mov_b32 s13, exec_lo
	v_cmpx_eq_f32_e32 s8, v20
; %bb.19:
	v_cmp_lt_f32_e64 s7, s9, v21
	s_and_b32 s12, s7, exec_lo
; %bb.20:
	s_or_b32 exec_lo, exec_lo, s13
	s_delay_alu instid0(SALU_CYCLE_1)
	s_or_not1_b32 s12, s12, exec_lo
.LBB2_21:
	s_or_b32 exec_lo, exec_lo, s11
	v_mov_b64_e32 v[6:7], v[20:21]
	v_cndmask_b32_e64 v23, s8, v20, s12
	v_cndmask_b32_e64 v24, s9, v21, s12
.LBB2_22:
	s_or_b32 exec_lo, exec_lo, s10
	v_cmp_lt_i32_e64 s7, v2, v34
	s_wait_loadcnt 0x0
	s_delay_alu instid0(VALU_DEP_2)
	v_dual_mov_b32 v20, v23 :: v_dual_mov_b32 v2, v24
	s_and_saveexec_b32 s8, s7
	s_cbranch_execz .LBB2_28
; %bb.23:
	s_mov_b32 s10, -1
	s_mov_b32 s9, exec_lo
	v_cmpx_nlt_f32_e32 v23, v14
	s_cbranch_execz .LBB2_27
; %bb.24:
	s_mov_b32 s10, 0
	s_mov_b32 s11, exec_lo
	v_cmpx_eq_f32_e32 v23, v14
; %bb.25:
	v_cmp_lt_f32_e64 s7, v24, v15
	s_and_b32 s10, s7, exec_lo
; %bb.26:
	s_or_b32 exec_lo, exec_lo, s11
	s_delay_alu instid0(SALU_CYCLE_1)
	s_or_not1_b32 s10, s10, exec_lo
.LBB2_27:
	s_or_b32 exec_lo, exec_lo, s9
	v_dual_cndmask_b32 v23, v23, v14, s10 :: v_dual_cndmask_b32 v24, v24, v15, s10
	v_dual_mov_b32 v20, v14 :: v_dual_mov_b32 v2, v15
.LBB2_28:
	s_or_b32 exec_lo, exec_lo, s8
	s_delay_alu instid0(VALU_DEP_2)
	v_dual_mov_b32 v15, v23 :: v_dual_mov_b32 v21, v24
	s_mov_b32 s8, exec_lo
	v_cmpx_lt_i32_e64 v28, v34
	s_cbranch_execz .LBB2_34
; %bb.29:
	s_mov_b32 s10, -1
	s_mov_b32 s9, exec_lo
	v_cmpx_nlt_f32_e32 v23, v8
	s_cbranch_execz .LBB2_33
; %bb.30:
	s_mov_b32 s10, 0
	s_mov_b32 s11, exec_lo
	v_cmpx_eq_f32_e32 v23, v8
; %bb.31:
	v_cmp_lt_f32_e64 s7, v24, v9
	s_and_b32 s10, s7, exec_lo
; %bb.32:
	s_or_b32 exec_lo, exec_lo, s11
	s_delay_alu instid0(SALU_CYCLE_1)
	s_or_not1_b32 s10, s10, exec_lo
.LBB2_33:
	s_or_b32 exec_lo, exec_lo, s9
	v_dual_cndmask_b32 v23, v23, v8, s10 :: v_dual_cndmask_b32 v24, v24, v9, s10
	v_dual_mov_b32 v15, v8 :: v_dual_mov_b32 v21, v9
.LBB2_34:
	s_or_b32 exec_lo, exec_lo, s8
	s_delay_alu instid0(VALU_DEP_2)
	v_dual_mov_b32 v14, v23 :: v_dual_mov_b32 v8, v24
	s_mov_b32 s8, exec_lo
	v_cmpx_lt_i32_e64 v27, v34
	;; [unrolled: 27-line block ×3, first 2 shown]
	s_cbranch_execz .LBB2_46
; %bb.41:
	s_mov_b32 s10, -1
	s_mov_b32 s9, exec_lo
	v_cmpx_nlt_f32_e32 v23, v18
	s_cbranch_execz .LBB2_45
; %bb.42:
	s_mov_b32 s10, 0
	s_mov_b32 s11, exec_lo
	v_cmpx_eq_f32_e32 v23, v18
; %bb.43:
	v_cmp_lt_f32_e64 s7, v24, v19
	s_and_b32 s10, s7, exec_lo
; %bb.44:
	s_or_b32 exec_lo, exec_lo, s11
	s_delay_alu instid0(SALU_CYCLE_1)
	s_or_not1_b32 s10, s10, exec_lo
.LBB2_45:
	s_or_b32 exec_lo, exec_lo, s9
	v_dual_cndmask_b32 v23, v23, v18, s10 :: v_dual_cndmask_b32 v24, v24, v19, s10
	v_dual_mov_b32 v9, v18 :: v_dual_mov_b32 v10, v19
.LBB2_46:
	s_or_b32 exec_lo, exec_lo, s8
	v_cmp_lt_i32_e64 s7, v4, v34
	s_delay_alu instid0(VALU_DEP_3)
	v_dual_mov_b32 v11, v23 :: v_dual_mov_b32 v4, v24
	s_and_saveexec_b32 s8, s7
	s_cbranch_execz .LBB2_52
; %bb.47:
	s_mov_b32 s10, -1
	s_mov_b32 s9, exec_lo
	v_cmpx_nlt_f32_e32 v23, v16
	s_cbranch_execz .LBB2_51
; %bb.48:
	s_mov_b32 s10, 0
	s_mov_b32 s11, exec_lo
	v_cmpx_eq_f32_e32 v23, v16
; %bb.49:
	v_cmp_lt_f32_e64 s7, v24, v17
	s_and_b32 s10, s7, exec_lo
; %bb.50:
	s_or_b32 exec_lo, exec_lo, s11
	s_delay_alu instid0(SALU_CYCLE_1)
	s_or_not1_b32 s10, s10, exec_lo
.LBB2_51:
	s_or_b32 exec_lo, exec_lo, s9
	v_dual_cndmask_b32 v23, v23, v16, s10 :: v_dual_cndmask_b32 v24, v24, v17, s10
	v_dual_mov_b32 v11, v16 :: v_dual_mov_b32 v4, v17
.LBB2_52:
	s_or_b32 exec_lo, exec_lo, s8
	v_cmp_lt_i32_e64 s7, v25, v34
	v_cmp_ge_i32_e64 s8, v35, v34
                                        ; implicit-def: $vgpr16_vgpr17
	s_and_saveexec_b32 s9, s8
	s_delay_alu instid0(SALU_CYCLE_1)
	s_xor_b32 s8, exec_lo, s9
; %bb.53:
	v_dual_mov_b32 v16, v5 :: v_dual_mov_b32 v17, v6
                                        ; implicit-def: $vgpr5
; %bb.54:
	s_or_saveexec_b32 s14, s8
	v_dual_cndmask_b32 v24, v24, v13, s7 :: v_dual_cndmask_b32 v18, v23, v12, s7
	s_xor_b32 exec_lo, exec_lo, s14
	s_cbranch_execz .LBB2_148
; %bb.55:
	v_cmp_lt_f32_e64 s9, v15, v20
	s_mov_b32 s10, exec_lo
	v_cmpx_nlt_f32_e32 v15, v20
; %bb.56:
	v_cmp_eq_f32_e64 s7, v15, v20
	v_cmp_lt_f32_e64 s8, v21, v2
	s_and_b32 s7, s7, s8
	s_and_not1_b32 s8, s9, exec_lo
	s_and_b32 s7, s7, exec_lo
	s_delay_alu instid0(SALU_CYCLE_1)
	s_or_b32 s9, s8, s7
; %bb.57:
	s_or_b32 exec_lo, exec_lo, s10
	v_dual_mov_b32 v16, v21 :: v_dual_mov_b32 v17, v15
	s_and_saveexec_b32 s7, s9
; %bb.58:
	v_dual_mov_b32 v16, v2 :: v_dual_mov_b32 v17, v20
	v_dual_mov_b32 v2, v21 :: v_dual_mov_b32 v20, v15
; %bb.59:
	s_or_b32 exec_lo, exec_lo, s7
	v_cmp_lt_f32_e64 s9, v9, v14
	s_mov_b32 s10, exec_lo
	v_cmpx_nlt_f32_e32 v9, v14
; %bb.60:
	v_cmp_eq_f32_e64 s7, v9, v14
	v_cmp_lt_f32_e64 s8, v10, v8
	s_and_b32 s7, s7, s8
	s_and_not1_b32 s8, s9, exec_lo
	s_and_b32 s7, s7, exec_lo
	s_delay_alu instid0(SALU_CYCLE_1)
	s_or_b32 s9, s8, s7
; %bb.61:
	s_or_b32 exec_lo, exec_lo, s10
	v_dual_mov_b32 v19, v10 :: v_dual_mov_b32 v21, v9
	s_and_saveexec_b32 s7, s9
; %bb.62:
	v_dual_mov_b32 v19, v8 :: v_dual_mov_b32 v21, v14
	v_dual_mov_b32 v8, v10 :: v_dual_mov_b32 v14, v9
; %bb.63:
	s_or_b32 exec_lo, exec_lo, s7
	;; [unrolled: 20-line block ×3, first 2 shown]
	v_cmp_neq_f32_e64 s7, v6, v3
	v_cmp_nlt_f32_e64 s8, v7, v5
	v_cmp_nlt_f32_e64 s9, v6, v3
	s_mov_b32 s10, exec_lo
	s_or_b32 s7, s7, s8
	s_delay_alu instid0(SALU_CYCLE_1) | instskip(SKIP_2) | instid1(VALU_DEP_1)
	s_and_b32 s7, s9, s7
	s_mov_b32 s9, -1
	v_dual_cndmask_b32 v12, v5, v7, s7 :: v_dual_cndmask_b32 v13, v3, v6, s7
	v_cmpx_nlt_f32_e32 v20, v13
	s_xor_b32 s10, exec_lo, s10
; %bb.68:
	v_cmp_eq_f32_e64 s8, v20, v13
	s_delay_alu instid0(VALU_DEP_3) | instskip(SKIP_1) | instid1(SALU_CYCLE_1)
	v_cmp_lt_f32_e64 s9, v2, v12
	s_and_b32 s8, s8, s9
	s_or_not1_b32 s9, s8, exec_lo
; %bb.69:
	s_or_b32 exec_lo, exec_lo, s10
	v_dual_mov_b32 v23, v2 :: v_dual_mov_b32 v24, v20
	s_and_saveexec_b32 s8, s9
; %bb.70:
	v_dual_mov_b32 v23, v12 :: v_dual_mov_b32 v24, v13
	v_dual_mov_b32 v12, v2 :: v_dual_mov_b32 v13, v20
; %bb.71:
	s_or_b32 exec_lo, exec_lo, s8
	v_cmp_lt_f32_e64 s10, v14, v17
	s_mov_b32 s11, exec_lo
	v_cmpx_nlt_f32_e32 v14, v17
; %bb.72:
	v_cmp_eq_f32_e64 s8, v14, v17
	v_cmp_lt_f32_e64 s9, v8, v16
	s_and_b32 s8, s8, s9
	s_and_not1_b32 s9, s10, exec_lo
	s_and_b32 s8, s8, exec_lo
	s_delay_alu instid0(SALU_CYCLE_1)
	s_or_b32 s10, s9, s8
; %bb.73:
	s_or_b32 exec_lo, exec_lo, s11
	v_dual_mov_b32 v20, v8 :: v_dual_mov_b32 v25, v14
	s_and_saveexec_b32 s8, s10
; %bb.74:
	v_dual_mov_b32 v20, v16 :: v_dual_mov_b32 v25, v17
	v_dual_mov_b32 v16, v8 :: v_dual_mov_b32 v17, v14
; %bb.75:
	s_or_b32 exec_lo, exec_lo, s8
	v_cmp_lt_f32_e64 s10, v11, v21
	s_mov_b32 s11, exec_lo
	v_cmpx_nlt_f32_e32 v11, v21
; %bb.76:
	v_cmp_eq_f32_e64 s8, v11, v21
	v_cmp_lt_f32_e64 s9, v4, v19
	s_and_b32 s8, s8, s9
	s_and_not1_b32 s9, s10, exec_lo
	s_and_b32 s8, s8, exec_lo
	s_delay_alu instid0(SALU_CYCLE_1)
	s_or_b32 s10, s9, s8
; %bb.77:
	s_or_b32 exec_lo, exec_lo, s11
	v_dual_mov_b32 v8, v4 :: v_dual_mov_b32 v26, v11
	s_and_saveexec_b32 s8, s10
; %bb.78:
	v_dual_mov_b32 v8, v19 :: v_dual_mov_b32 v26, v21
	v_dual_mov_b32 v19, v4 :: v_dual_mov_b32 v21, v11
; %bb.79:
	s_or_b32 exec_lo, exec_lo, s8
	v_dual_cndmask_b32 v4, v6, v3, s7 :: v_dual_cndmask_b32 v5, v7, v5, s7
	s_delay_alu instid0(VALU_DEP_1) | instskip(NEXT) | instid1(VALU_DEP_2)
	v_cmp_eq_f32_e64 s7, v13, v4
	v_cmp_lt_f32_e64 s8, v12, v5
	v_cmp_lt_f32_e64 s9, v13, v4
	v_dual_mov_b32 v2, v5 :: v_dual_mov_b32 v3, v4
	s_and_b32 s7, s7, s8
	s_delay_alu instid0(SALU_CYCLE_1) | instskip(NEXT) | instid1(SALU_CYCLE_1)
	s_or_b32 s8, s9, s7
	s_and_saveexec_b32 s7, s8
; %bb.80:
	v_dual_mov_b32 v2, v12 :: v_dual_mov_b32 v3, v13
	v_dual_mov_b32 v12, v5 :: v_dual_mov_b32 v13, v4
; %bb.81:
	s_or_b32 exec_lo, exec_lo, s7
	v_cmp_lt_f32_e64 s9, v17, v24
	s_mov_b32 s10, exec_lo
	v_cmpx_nlt_f32_e32 v17, v24
; %bb.82:
	v_cmp_eq_f32_e64 s7, v17, v24
	v_cmp_lt_f32_e64 s8, v16, v23
	s_and_b32 s7, s7, s8
	s_and_not1_b32 s8, s9, exec_lo
	s_and_b32 s7, s7, exec_lo
	s_delay_alu instid0(SALU_CYCLE_1)
	s_or_b32 s9, s8, s7
; %bb.83:
	s_or_b32 exec_lo, exec_lo, s10
	v_dual_mov_b32 v6, v16 :: v_dual_mov_b32 v14, v17
	s_and_saveexec_b32 s7, s9
; %bb.84:
	v_dual_mov_b32 v6, v23 :: v_dual_mov_b32 v14, v24
	v_dual_mov_b32 v23, v16 :: v_dual_mov_b32 v24, v17
; %bb.85:
	s_or_b32 exec_lo, exec_lo, s7
	v_cmp_lt_f32_e64 s9, v21, v25
	s_mov_b32 s10, exec_lo
	v_cmpx_nlt_f32_e32 v21, v25
; %bb.86:
	v_cmp_eq_f32_e64 s7, v21, v25
	v_cmp_lt_f32_e64 s8, v19, v20
	s_and_b32 s7, s7, s8
	s_and_not1_b32 s8, s9, exec_lo
	s_and_b32 s7, s7, exec_lo
	s_delay_alu instid0(SALU_CYCLE_1)
	s_or_b32 s9, s8, s7
; %bb.87:
	s_or_b32 exec_lo, exec_lo, s10
	v_dual_mov_b32 v10, v19 :: v_dual_mov_b32 v16, v21
	;; [unrolled: 20-line block ×16, first 2 shown]
	s_and_saveexec_b32 s7, s9
; %bb.144:
	v_dual_mov_b32 v10, v25 :: v_dual_mov_b32 v9, v26
	v_dual_mov_b32 v25, v17 :: v_dual_mov_b32 v26, v23
; %bb.145:
	s_or_b32 exec_lo, exec_lo, s7
	v_cmp_neq_f32_e64 s7, v24, v4
	v_cmp_nlt_f32_e64 s8, v6, v19
	v_cmp_neq_f32_e64 s10, v14, v13
	v_cmp_nlt_f32_e64 s9, v24, v4
	;; [unrolled: 2-line block ×3, first 2 shown]
	s_or_b32 s7, s7, s8
	v_cmp_nlt_f32_e64 s8, v7, v12
	s_and_b32 s7, s9, s7
	v_cmp_nlt_f32_e64 s9, v14, v13
	s_or_b32 s12, s11, s12
	v_cndmask_b32_e64 v11, v24, v4, s7
	s_or_b32 s15, s10, s8
	v_cmp_nlt_f32_e64 s8, v26, v28
	s_and_b32 s9, s9, s15
	s_and_b32 s8, s8, s12
	s_delay_alu instid0(SALU_CYCLE_1) | instskip(SKIP_3) | instid1(VALU_DEP_3)
	v_dual_cndmask_b32 v18, v4, v24, s7 :: v_dual_cndmask_b32 v8, v27, v25, s8
	v_cndmask_b32_e64 v4, v6, v19, s7
	v_cmp_eq_f32_e64 s10, v11, v9
	v_cmp_lt_f32_e64 s11, v11, v9
	v_cmp_lt_f32_e64 s13, v4, v10
	s_and_b32 s10, s10, s13
	s_delay_alu instid0(SALU_CYCLE_1) | instskip(NEXT) | instid1(SALU_CYCLE_1)
	s_or_b32 s10, s11, s10
	s_and_saveexec_b32 s11, s10
	s_delay_alu instid0(SALU_CYCLE_1)
	s_xor_b32 s10, exec_lo, s11
; %bb.146:
	v_mov_b64_e32 v[20:21], v[10:11]
	v_dual_mov_b32 v10, v8 :: v_dual_mov_b32 v5, v9
	s_delay_alu instid0(VALU_DEP_1) | instskip(NEXT) | instid1(VALU_DEP_2)
	v_mov_b64_e32 v[8:9], v[10:11]
	v_mov_b64_e32 v[10:11], v[4:5]
	s_delay_alu instid0(VALU_DEP_4)
	v_mov_b64_e32 v[4:5], v[20:21]
; %bb.147:
	s_or_saveexec_b32 s10, s10
	v_dual_cndmask_b32 v2, v12, v7, s9 :: v_dual_cndmask_b32 v17, v14, v13, s9
	v_cndmask_b32_e64 v15, v26, v28, s8
	s_xor_b32 exec_lo, exec_lo, s10
	s_delay_alu instid0(SALU_CYCLE_1)
	s_or_b32 exec_lo, exec_lo, s10
	v_dual_cndmask_b32 v24, v19, v6, s7 :: v_dual_cndmask_b32 v21, v25, v27, s8
	v_dual_cndmask_b32 v7, v7, v12, s9 :: v_dual_cndmask_b32 v20, v13, v14, s9
	v_cndmask_b32_e64 v14, v28, v26, s8
.LBB2_148:
	s_or_b32 exec_lo, exec_lo, s14
	v_and_b32_e32 v5, 0xf0, v35
	; wave barrier
	v_mul_u32_u24_e32 v36, 0x808, v22
	s_mov_b32 s9, 0
	s_delay_alu instid0(VALU_DEP_2) | instskip(SKIP_1) | instid1(VALU_DEP_1)
	v_dual_lshlrev_b32 v12, 3, v35 :: v_dual_min_i32 v6, v34, v5
	s_mov_b32 s8, exec_lo
	v_add_min_i32_e64 v38, v6, 8, v34
	s_delay_alu instid0(VALU_DEP_2)
	v_mad_u32_u24 v37, 0x808, v22, v12
	ds_store_2addr_b32 v37, v16, v17 offset0:1 offset1:2
	ds_store_2addr_b32 v37, v7, v20 offset0:3 offset1:4
	;; [unrolled: 1-line block ×4, first 2 shown]
	v_add_min_i32_e64 v39, v38, 8, v34
	v_and_b32_e32 v5, 8, v35
	ds_store_2addr_b32 v37, v8, v9 offset0:9 offset1:10
	ds_store_2addr_b32 v37, v10, v11 offset0:11 offset1:12
	;; [unrolled: 1-line block ×3, first 2 shown]
	v_lshlrev_b32_e32 v2, 3, v6
	ds_store_2addr_b32 v37, v3, v24 offset1:15
	v_dual_sub_nc_u32 v13, v39, v38 :: v_dual_min_i32 v5, v34, v5
	v_sub_nc_u32_e32 v12, v38, v6
	v_mad_u32_u24 v2, 0x808, v22, v2
	; wave barrier
	s_delay_alu instid0(VALU_DEP_3) | instskip(SKIP_1) | instid1(VALU_DEP_1)
	v_sub_nc_u32_e32 v19, v5, v13
	v_cmp_ge_i32_e64 s7, v5, v13
	v_dual_cndmask_b32 v7, 0, v19, s7 :: v_dual_min_i32 v12, v5, v12
	s_delay_alu instid0(VALU_DEP_1)
	v_cmpx_lt_i32_e64 v7, v12
	s_cbranch_execz .LBB2_156
; %bb.149:
	v_dual_lshlrev_b32 v3, 3, v38 :: v_dual_lshlrev_b32 v4, 3, v5
                                        ; implicit-def: $sgpr10
	s_delay_alu instid0(VALU_DEP_1)
	v_add3_u32 v3, v36, v3, v4
	s_branch .LBB2_152
.LBB2_150:                              ;   in Loop: Header=BB2_152 Depth=1
	s_or_b32 exec_lo, exec_lo, s13
	s_delay_alu instid0(SALU_CYCLE_1) | instskip(SKIP_1) | instid1(SALU_CYCLE_1)
	s_and_not1_b32 s7, s10, exec_lo
	s_and_b32 s10, s12, exec_lo
	s_or_b32 s10, s7, s10
.LBB2_151:                              ;   in Loop: Header=BB2_152 Depth=1
	s_or_b32 exec_lo, exec_lo, s11
	v_dual_add_nc_u32 v8, 1, v4 :: v_dual_cndmask_b32 v12, v12, v4, s10
	s_delay_alu instid0(VALU_DEP_1) | instskip(NEXT) | instid1(VALU_DEP_1)
	v_cndmask_b32_e64 v7, v8, v7, s10
	v_cmp_ge_i32_e64 s7, v7, v12
	s_or_b32 s9, s7, s9
	s_delay_alu instid0(SALU_CYCLE_1)
	s_and_not1_b32 exec_lo, exec_lo, s9
	s_cbranch_execz .LBB2_155
.LBB2_152:                              ; =>This Inner Loop Header: Depth=1
	v_sub_nc_u32_e32 v4, v12, v7
	s_or_b32 s10, s10, exec_lo
	s_mov_b32 s11, exec_lo
	s_delay_alu instid0(VALU_DEP_1) | instskip(NEXT) | instid1(VALU_DEP_1)
	v_lshrrev_b32_e32 v4, 1, v4
	v_add_nc_u32_e32 v4, v4, v7
	s_delay_alu instid0(VALU_DEP_1) | instskip(SKIP_1) | instid1(VALU_DEP_2)
	v_not_b32_e32 v9, v4
	v_lshl_add_u32 v8, v4, 3, v2
	v_lshl_add_u32 v9, v9, 3, v3
	ds_load_b32 v10, v8
	ds_load_b32 v11, v9
	s_wait_dscnt 0x0
	v_cmpx_nlt_f32_e32 v11, v10
	s_cbranch_execz .LBB2_151
; %bb.153:                              ;   in Loop: Header=BB2_152 Depth=1
	s_mov_b32 s12, 0
	s_mov_b32 s13, exec_lo
	v_cmpx_eq_f32_e32 v11, v10
	s_cbranch_execz .LBB2_150
; %bb.154:                              ;   in Loop: Header=BB2_152 Depth=1
	ds_load_b32 v9, v9 offset:4
	ds_load_b32 v8, v8 offset:4
	s_wait_dscnt 0x0
	v_cmp_lt_f32_e64 s7, v9, v8
	s_and_b32 s12, s7, exec_lo
	s_branch .LBB2_150
.LBB2_155:
	s_or_b32 exec_lo, exec_lo, s9
.LBB2_156:
	s_delay_alu instid0(SALU_CYCLE_1) | instskip(SKIP_2) | instid1(VALU_DEP_2)
	s_or_b32 exec_lo, exec_lo, s8
	v_add_nc_u32_e32 v3, v38, v5
	v_lshl_add_u32 v8, v7, 3, v2
	v_sub_nc_u32_e32 v10, v3, v7
	s_delay_alu instid0(VALU_DEP_1) | instskip(SKIP_4) | instid1(SALU_CYCLE_1)
	v_lshl_add_u32 v11, v10, 3, v36
	v_cmp_le_i32_e64 s7, v39, v10
	ds_load_b64 v[2:3], v8
	ds_load_b64 v[4:5], v11
	s_and_saveexec_b32 s8, s7
	s_xor_b32 s7, exec_lo, s8
	s_delay_alu instid0(SALU_CYCLE_1)
	s_or_saveexec_b32 s10, s7
	v_add_nc_u32_e32 v12, v7, v6
	s_mov_b32 s9, 0
	s_xor_b32 exec_lo, exec_lo, s10
	s_cbranch_execz .LBB2_162
; %bb.157:
	s_delay_alu instid0(VALU_DEP_1)
	v_cmp_gt_i32_e64 s7, v38, v12
	s_wait_dscnt 0x0
	v_cmp_nlt_f32_e64 s8, v4, v2
	s_and_b32 s9, s7, s8
	s_mov_b32 s7, -1
	s_and_saveexec_b32 s8, s9
	s_cbranch_execz .LBB2_161
; %bb.158:
	s_mov_b32 s9, 0
	s_mov_b32 s11, exec_lo
	v_cmpx_eq_f32_e32 v4, v2
; %bb.159:
	v_cmp_lt_f32_e64 s7, v5, v3
	s_and_b32 s9, s7, exec_lo
; %bb.160:
	s_or_b32 exec_lo, exec_lo, s11
	s_delay_alu instid0(SALU_CYCLE_1)
	s_or_not1_b32 s7, s9, exec_lo
.LBB2_161:
	s_or_b32 exec_lo, exec_lo, s8
	s_delay_alu instid0(SALU_CYCLE_1)
	s_and_b32 s9, s7, exec_lo
.LBB2_162:
	s_or_b32 exec_lo, exec_lo, s10
	s_xor_b32 s7, s9, -1
                                        ; implicit-def: $vgpr6_vgpr7
	s_delay_alu instid0(SALU_CYCLE_1) | instskip(NEXT) | instid1(SALU_CYCLE_1)
	s_and_saveexec_b32 s8, s7
	s_xor_b32 s7, exec_lo, s8
; %bb.163:
	ds_load_b64 v[6:7], v8 offset:8
                                        ; implicit-def: $vgpr11
; %bb.164:
	s_or_saveexec_b32 s7, s7
	s_wait_dscnt 0x0
	v_mov_b64_e32 v[8:9], v[4:5]
	s_xor_b32 exec_lo, exec_lo, s7
; %bb.165:
	ds_load_b64 v[8:9], v11 offset:8
	v_mov_b64_e32 v[6:7], v[2:3]
; %bb.166:
	s_or_b32 exec_lo, exec_lo, s7
	v_dual_add_nc_u32 v11, 1, v10 :: v_dual_add_nc_u32 v13, 1, v12
	s_mov_b32 s10, 0
	s_mov_b32 s11, exec_lo
	s_delay_alu instid0(VALU_DEP_1) | instskip(NEXT) | instid1(VALU_DEP_1)
	v_dual_cndmask_b32 v15, v10, v11, s9 :: v_dual_cndmask_b32 v14, v13, v12, s9
	v_cmpx_lt_i32_e64 v15, v39
	s_cbranch_execz .LBB2_172
; %bb.167:
	s_delay_alu instid0(VALU_DEP_2)
	v_cmp_lt_i32_e64 s7, v14, v38
	s_wait_dscnt 0x0
	v_cmp_nlt_f32_e64 s8, v8, v6
	s_and_b32 s10, s7, s8
	s_mov_b32 s7, -1
	s_and_saveexec_b32 s8, s10
	s_cbranch_execz .LBB2_171
; %bb.168:
	s_mov_b32 s10, 0
	s_mov_b32 s12, exec_lo
	v_cmpx_eq_f32_e32 v8, v6
; %bb.169:
	v_cmp_lt_f32_e64 s7, v9, v7
	s_and_b32 s10, s7, exec_lo
; %bb.170:
	s_or_b32 exec_lo, exec_lo, s12
	s_delay_alu instid0(SALU_CYCLE_1)
	s_or_not1_b32 s7, s10, exec_lo
.LBB2_171:
	s_or_b32 exec_lo, exec_lo, s8
	s_delay_alu instid0(SALU_CYCLE_1)
	s_and_b32 s10, s7, exec_lo
.LBB2_172:
	s_or_b32 exec_lo, exec_lo, s11
	s_xor_b32 s7, s10, -1
                                        ; implicit-def: $vgpr10_vgpr11
	s_delay_alu instid0(SALU_CYCLE_1) | instskip(NEXT) | instid1(SALU_CYCLE_1)
	s_and_saveexec_b32 s8, s7
	s_xor_b32 s7, exec_lo, s8
; %bb.173:
	v_lshl_add_u32 v10, v14, 3, v36
	ds_load_b64 v[10:11], v10 offset:8
; %bb.174:
	s_or_saveexec_b32 s7, s7
	s_wait_dscnt 0x0
	v_mov_b64_e32 v[12:13], v[8:9]
	s_xor_b32 exec_lo, exec_lo, s7
; %bb.175:
	v_lshl_add_u32 v10, v15, 3, v36
	ds_load_b64 v[12:13], v10 offset:8
	v_mov_b64_e32 v[10:11], v[6:7]
; %bb.176:
	s_or_b32 exec_lo, exec_lo, s7
	v_add_nc_u32_e32 v16, 1, v15
	s_delay_alu instid0(VALU_DEP_1) | instskip(NEXT) | instid1(VALU_DEP_1)
	v_dual_cndmask_b32 v18, v15, v16, s10 :: v_dual_add_nc_u32 v15, 1, v14
	v_cmp_ge_i32_e64 s7, v18, v39
	s_and_saveexec_b32 s8, s7
	s_delay_alu instid0(SALU_CYCLE_1) | instskip(NEXT) | instid1(SALU_CYCLE_1)
	s_xor_b32 s7, exec_lo, s8
	s_or_saveexec_b32 s12, s7
	v_cndmask_b32_e64 v19, v15, v14, s10
	s_mov_b32 s11, 0
	s_xor_b32 exec_lo, exec_lo, s12
	s_cbranch_execz .LBB2_182
; %bb.177:
	s_delay_alu instid0(VALU_DEP_1)
	v_cmp_lt_i32_e64 s7, v19, v38
	s_wait_dscnt 0x0
	v_cmp_nlt_f32_e64 s8, v12, v10
	s_and_b32 s11, s7, s8
	s_mov_b32 s7, -1
	s_and_saveexec_b32 s8, s11
	s_cbranch_execz .LBB2_181
; %bb.178:
	s_mov_b32 s11, 0
	s_mov_b32 s13, exec_lo
	v_cmpx_eq_f32_e32 v12, v10
; %bb.179:
	v_cmp_lt_f32_e64 s7, v13, v11
	s_and_b32 s11, s7, exec_lo
; %bb.180:
	s_or_b32 exec_lo, exec_lo, s13
	s_delay_alu instid0(SALU_CYCLE_1)
	s_or_not1_b32 s7, s11, exec_lo
.LBB2_181:
	s_or_b32 exec_lo, exec_lo, s8
	s_delay_alu instid0(SALU_CYCLE_1)
	s_and_b32 s11, s7, exec_lo
.LBB2_182:
	s_or_b32 exec_lo, exec_lo, s12
	s_xor_b32 s7, s11, -1
                                        ; implicit-def: $vgpr14_vgpr15
	s_delay_alu instid0(SALU_CYCLE_1) | instskip(NEXT) | instid1(SALU_CYCLE_1)
	s_and_saveexec_b32 s8, s7
	s_xor_b32 s7, exec_lo, s8
; %bb.183:
	v_lshl_add_u32 v14, v19, 3, v36
	ds_load_b64 v[14:15], v14 offset:8
; %bb.184:
	s_or_saveexec_b32 s7, s7
	s_wait_dscnt 0x0
	v_mov_b64_e32 v[16:17], v[12:13]
	s_xor_b32 exec_lo, exec_lo, s7
; %bb.185:
	v_lshl_add_u32 v14, v18, 3, v36
	ds_load_b64 v[16:17], v14 offset:8
	v_mov_b64_e32 v[14:15], v[10:11]
; %bb.186:
	s_or_b32 exec_lo, exec_lo, s7
	v_dual_add_nc_u32 v20, 1, v18 :: v_dual_add_nc_u32 v21, 1, v19
	s_mov_b32 s12, 0
	s_mov_b32 s13, exec_lo
	s_delay_alu instid0(VALU_DEP_1) | instskip(NEXT) | instid1(VALU_DEP_1)
	v_dual_cndmask_b32 v23, v18, v20, s11 :: v_dual_cndmask_b32 v22, v21, v19, s11
	v_cmpx_lt_i32_e64 v23, v39
	s_cbranch_execz .LBB2_192
; %bb.187:
	s_delay_alu instid0(VALU_DEP_2)
	v_cmp_lt_i32_e64 s7, v22, v38
	s_wait_dscnt 0x0
	v_cmp_nlt_f32_e64 s8, v16, v14
	s_and_b32 s12, s7, s8
	s_mov_b32 s7, -1
	s_and_saveexec_b32 s8, s12
	s_cbranch_execz .LBB2_191
; %bb.188:
	s_mov_b32 s12, 0
	s_mov_b32 s14, exec_lo
	v_cmpx_eq_f32_e32 v16, v14
; %bb.189:
	v_cmp_lt_f32_e64 s7, v17, v15
	s_and_b32 s12, s7, exec_lo
; %bb.190:
	s_or_b32 exec_lo, exec_lo, s14
	s_delay_alu instid0(SALU_CYCLE_1)
	s_or_not1_b32 s7, s12, exec_lo
.LBB2_191:
	s_or_b32 exec_lo, exec_lo, s8
	s_delay_alu instid0(SALU_CYCLE_1)
	s_and_b32 s12, s7, exec_lo
.LBB2_192:
	s_or_b32 exec_lo, exec_lo, s13
	s_xor_b32 s7, s12, -1
                                        ; implicit-def: $vgpr18_vgpr19
	s_delay_alu instid0(SALU_CYCLE_1) | instskip(NEXT) | instid1(SALU_CYCLE_1)
	s_and_saveexec_b32 s8, s7
	s_xor_b32 s7, exec_lo, s8
; %bb.193:
	v_lshl_add_u32 v18, v22, 3, v36
	ds_load_b64 v[18:19], v18 offset:8
; %bb.194:
	s_or_saveexec_b32 s7, s7
	s_wait_dscnt 0x0
	v_mov_b64_e32 v[20:21], v[16:17]
	s_xor_b32 exec_lo, exec_lo, s7
; %bb.195:
	v_lshl_add_u32 v18, v23, 3, v36
	ds_load_b64 v[20:21], v18 offset:8
	v_mov_b64_e32 v[18:19], v[14:15]
; %bb.196:
	s_or_b32 exec_lo, exec_lo, s7
	v_add_nc_u32_e32 v24, 1, v23
	s_delay_alu instid0(VALU_DEP_1) | instskip(NEXT) | instid1(VALU_DEP_1)
	v_dual_cndmask_b32 v26, v23, v24, s12 :: v_dual_add_nc_u32 v23, 1, v22
	v_cmp_ge_i32_e64 s7, v26, v39
	s_and_saveexec_b32 s8, s7
	s_delay_alu instid0(SALU_CYCLE_1) | instskip(NEXT) | instid1(SALU_CYCLE_1)
	s_xor_b32 s7, exec_lo, s8
	s_or_saveexec_b32 s14, s7
	v_cndmask_b32_e64 v27, v23, v22, s12
	s_mov_b32 s13, 0
	s_xor_b32 exec_lo, exec_lo, s14
	s_cbranch_execz .LBB2_202
; %bb.197:
	s_delay_alu instid0(VALU_DEP_1)
	v_cmp_lt_i32_e64 s7, v27, v38
	s_wait_dscnt 0x0
	v_cmp_nlt_f32_e64 s8, v20, v18
	s_and_b32 s13, s7, s8
	s_mov_b32 s7, -1
	s_and_saveexec_b32 s8, s13
	s_cbranch_execz .LBB2_201
; %bb.198:
	s_mov_b32 s13, 0
	s_mov_b32 s15, exec_lo
	v_cmpx_eq_f32_e32 v20, v18
; %bb.199:
	v_cmp_lt_f32_e64 s7, v21, v19
	s_and_b32 s13, s7, exec_lo
; %bb.200:
	s_or_b32 exec_lo, exec_lo, s15
	s_delay_alu instid0(SALU_CYCLE_1)
	s_or_not1_b32 s7, s13, exec_lo
.LBB2_201:
	s_or_b32 exec_lo, exec_lo, s8
	s_delay_alu instid0(SALU_CYCLE_1)
	s_and_b32 s13, s7, exec_lo
.LBB2_202:
	s_or_b32 exec_lo, exec_lo, s14
	s_xor_b32 s7, s13, -1
                                        ; implicit-def: $vgpr22_vgpr23
	s_delay_alu instid0(SALU_CYCLE_1) | instskip(NEXT) | instid1(SALU_CYCLE_1)
	s_and_saveexec_b32 s8, s7
	s_xor_b32 s7, exec_lo, s8
; %bb.203:
	v_lshl_add_u32 v22, v27, 3, v36
	ds_load_b64 v[22:23], v22 offset:8
; %bb.204:
	s_or_saveexec_b32 s7, s7
	s_wait_dscnt 0x0
	v_mov_b64_e32 v[24:25], v[20:21]
	s_xor_b32 exec_lo, exec_lo, s7
; %bb.205:
	v_lshl_add_u32 v22, v26, 3, v36
	ds_load_b64 v[24:25], v22 offset:8
	v_mov_b64_e32 v[22:23], v[18:19]
; %bb.206:
	s_or_b32 exec_lo, exec_lo, s7
	v_dual_add_nc_u32 v28, 1, v26 :: v_dual_add_nc_u32 v29, 1, v27
	s_mov_b32 s14, 0
	s_mov_b32 s15, exec_lo
	s_delay_alu instid0(VALU_DEP_1) | instskip(NEXT) | instid1(VALU_DEP_1)
	v_dual_cndmask_b32 v31, v26, v28, s13 :: v_dual_cndmask_b32 v30, v29, v27, s13
	v_cmpx_lt_i32_e64 v31, v39
	s_cbranch_execz .LBB2_212
; %bb.207:
	s_delay_alu instid0(VALU_DEP_2)
	v_cmp_lt_i32_e64 s7, v30, v38
	s_wait_dscnt 0x0
	v_cmp_nlt_f32_e64 s8, v24, v22
	s_and_b32 s14, s7, s8
	s_mov_b32 s7, -1
	s_and_saveexec_b32 s8, s14
	s_cbranch_execz .LBB2_211
; %bb.208:
	s_mov_b32 s14, 0
	s_mov_b32 s16, exec_lo
	v_cmpx_eq_f32_e32 v24, v22
; %bb.209:
	v_cmp_lt_f32_e64 s7, v25, v23
	s_and_b32 s14, s7, exec_lo
; %bb.210:
	s_or_b32 exec_lo, exec_lo, s16
	s_delay_alu instid0(SALU_CYCLE_1)
	s_or_not1_b32 s7, s14, exec_lo
.LBB2_211:
	s_or_b32 exec_lo, exec_lo, s8
	s_delay_alu instid0(SALU_CYCLE_1)
	s_and_b32 s14, s7, exec_lo
.LBB2_212:
	s_or_b32 exec_lo, exec_lo, s15
	s_xor_b32 s7, s14, -1
                                        ; implicit-def: $vgpr26_vgpr27
	s_delay_alu instid0(SALU_CYCLE_1) | instskip(NEXT) | instid1(SALU_CYCLE_1)
	s_and_saveexec_b32 s8, s7
	s_xor_b32 s7, exec_lo, s8
; %bb.213:
	v_lshl_add_u32 v26, v30, 3, v36
	ds_load_b64 v[26:27], v26 offset:8
; %bb.214:
	s_or_saveexec_b32 s7, s7
	s_wait_dscnt 0x0
	v_mov_b64_e32 v[28:29], v[24:25]
	s_xor_b32 exec_lo, exec_lo, s7
; %bb.215:
	v_lshl_add_u32 v26, v31, 3, v36
	ds_load_b64 v[28:29], v26 offset:8
	v_mov_b64_e32 v[26:27], v[22:23]
; %bb.216:
	s_or_b32 exec_lo, exec_lo, s7
	v_add_nc_u32_e32 v32, 1, v31
	s_delay_alu instid0(VALU_DEP_1) | instskip(NEXT) | instid1(VALU_DEP_1)
	v_dual_cndmask_b32 v40, v31, v32, s14 :: v_dual_add_nc_u32 v31, 1, v30
	v_cmp_ge_i32_e64 s7, v40, v39
	s_and_saveexec_b32 s8, s7
	s_delay_alu instid0(SALU_CYCLE_1) | instskip(NEXT) | instid1(SALU_CYCLE_1)
	s_xor_b32 s7, exec_lo, s8
	s_or_saveexec_b32 s16, s7
	v_cndmask_b32_e64 v41, v31, v30, s14
	s_mov_b32 s15, 0
	s_xor_b32 exec_lo, exec_lo, s16
	s_cbranch_execz .LBB2_222
; %bb.217:
	s_delay_alu instid0(VALU_DEP_1)
	v_cmp_lt_i32_e64 s7, v41, v38
	s_wait_dscnt 0x0
	v_cmp_nlt_f32_e64 s8, v28, v26
	s_and_b32 s15, s7, s8
	s_mov_b32 s7, -1
	s_and_saveexec_b32 s8, s15
	s_cbranch_execz .LBB2_221
; %bb.218:
	s_mov_b32 s15, 0
	s_mov_b32 s17, exec_lo
	v_cmpx_eq_f32_e32 v28, v26
; %bb.219:
	v_cmp_lt_f32_e64 s7, v29, v27
	s_and_b32 s15, s7, exec_lo
; %bb.220:
	s_or_b32 exec_lo, exec_lo, s17
	s_delay_alu instid0(SALU_CYCLE_1)
	s_or_not1_b32 s7, s15, exec_lo
.LBB2_221:
	s_or_b32 exec_lo, exec_lo, s8
	s_delay_alu instid0(SALU_CYCLE_1)
	s_and_b32 s15, s7, exec_lo
.LBB2_222:
	s_or_b32 exec_lo, exec_lo, s16
	s_xor_b32 s7, s15, -1
                                        ; implicit-def: $vgpr30_vgpr31
	s_delay_alu instid0(SALU_CYCLE_1) | instskip(NEXT) | instid1(SALU_CYCLE_1)
	s_and_saveexec_b32 s8, s7
	s_xor_b32 s7, exec_lo, s8
; %bb.223:
	v_lshl_add_u32 v30, v41, 3, v36
	ds_load_b64 v[30:31], v30 offset:8
; %bb.224:
	s_or_saveexec_b32 s7, s7
	s_wait_dscnt 0x0
	v_mov_b64_e32 v[32:33], v[28:29]
	s_xor_b32 exec_lo, exec_lo, s7
; %bb.225:
	v_lshl_add_u32 v30, v40, 3, v36
	ds_load_b64 v[32:33], v30 offset:8
	v_mov_b64_e32 v[30:31], v[26:27]
; %bb.226:
	s_or_b32 exec_lo, exec_lo, s7
	v_add_nc_u32_e32 v42, 1, v40
	s_mov_b32 s8, 0
	s_mov_b32 s16, exec_lo
	s_delay_alu instid0(VALU_DEP_1) | instskip(NEXT) | instid1(VALU_DEP_1)
	v_cndmask_b32_e64 v40, v40, v42, s15
	v_cmpx_lt_i32_e64 v40, v39
	s_cbranch_execz .LBB2_232
; %bb.227:
	v_add_nc_u32_e32 v39, 1, v41
	s_wait_dscnt 0x0
	v_cmp_nlt_f32_e64 s7, v32, v30
	s_delay_alu instid0(VALU_DEP_2) | instskip(NEXT) | instid1(VALU_DEP_1)
	v_cndmask_b32_e64 v39, v39, v41, s15
	v_cmp_lt_i32_e64 s8, v39, v38
	s_and_b32 s17, s8, s7
	s_mov_b32 s7, -1
	s_and_saveexec_b32 s8, s17
	s_cbranch_execz .LBB2_231
; %bb.228:
	s_mov_b32 s17, 0
	s_mov_b32 s18, exec_lo
	v_cmpx_eq_f32_e32 v32, v30
; %bb.229:
	v_cmp_lt_f32_e64 s7, v33, v31
	s_and_b32 s17, s7, exec_lo
; %bb.230:
	s_or_b32 exec_lo, exec_lo, s18
	s_delay_alu instid0(SALU_CYCLE_1)
	s_or_not1_b32 s7, s17, exec_lo
.LBB2_231:
	s_or_b32 exec_lo, exec_lo, s8
	s_delay_alu instid0(SALU_CYCLE_1)
	s_and_b32 s8, s7, exec_lo
.LBB2_232:
	s_or_b32 exec_lo, exec_lo, s16
	v_and_b32_e32 v38, 0xe0, v35
	v_dual_cndmask_b32 v28, v26, v28, s15 :: v_dual_cndmask_b32 v29, v27, v29, s15
	v_dual_cndmask_b32 v14, v14, v16, s12 :: v_dual_bitop2_b32 v16, 24, v35 bitop3:0x40
	s_delay_alu instid0(VALU_DEP_3) | instskip(SKIP_2) | instid1(VALU_DEP_3)
	v_dual_cndmask_b32 v23, v23, v25, s14 :: v_dual_min_i32 v26, v34, v38
	v_dual_cndmask_b32 v9, v7, v9, s10 :: v_dual_cndmask_b32 v10, v10, v12, s11
	v_cndmask_b32_e64 v11, v11, v13, s11
	v_add_min_i32_e64 v38, v26, 16, v34
	v_min_i32_e32 v7, v34, v16
	v_dual_cndmask_b32 v4, v2, v4, s9 :: v_dual_cndmask_b32 v5, v3, v5, s9
	s_wait_dscnt 0x0
	s_delay_alu instid0(VALU_DEP_3) | instskip(SKIP_3) | instid1(VALU_DEP_3)
	v_dual_cndmask_b32 v13, v31, v33, s8 :: v_dual_sub_nc_u32 v3, v38, v26
	v_add_min_i32_e64 v39, v38, 16, v34
	v_dual_cndmask_b32 v22, v22, v24, s14 :: v_dual_cndmask_b32 v19, v19, v21, s13
	v_dual_cndmask_b32 v18, v18, v20, s13 :: v_dual_cndmask_b32 v15, v15, v17, s12
	v_dual_sub_nc_u32 v16, v39, v38 :: v_dual_cndmask_b32 v8, v6, v8, s10
	; wave barrier
	s_delay_alu instid0(VALU_DEP_1)
	v_dual_sub_nc_u32 v2, v7, v16 :: v_dual_min_i32 v3, v7, v3
	v_cmp_ge_i32_e64 s7, v7, v16
	v_cndmask_b32_e64 v12, v30, v32, s8
	s_mov_b32 s8, exec_lo
	ds_store_2addr_b64 v37, v[4:5], v[8:9] offset1:1
	ds_store_2addr_b64 v37, v[10:11], v[14:15] offset0:2 offset1:3
	v_cndmask_b32_e64 v6, 0, v2, s7
	v_lshl_add_u32 v2, v26, 3, v36
	ds_store_2addr_b64 v37, v[18:19], v[22:23] offset0:4 offset1:5
	ds_store_2addr_b64 v37, v[28:29], v[12:13] offset0:6 offset1:7
	; wave barrier
	v_cmpx_lt_i32_e64 v6, v3
	s_cbranch_execz .LBB2_240
; %bb.233:
	v_dual_lshlrev_b32 v4, 3, v38 :: v_dual_lshlrev_b32 v5, 3, v7
	s_mov_b32 s9, 0
                                        ; implicit-def: $sgpr10
	s_delay_alu instid0(VALU_DEP_1)
	v_add3_u32 v4, v36, v4, v5
	s_branch .LBB2_236
.LBB2_234:                              ;   in Loop: Header=BB2_236 Depth=1
	s_or_b32 exec_lo, exec_lo, s13
	s_delay_alu instid0(SALU_CYCLE_1) | instskip(SKIP_1) | instid1(SALU_CYCLE_1)
	s_and_not1_b32 s7, s10, exec_lo
	s_and_b32 s10, s12, exec_lo
	s_or_b32 s10, s7, s10
.LBB2_235:                              ;   in Loop: Header=BB2_236 Depth=1
	s_or_b32 exec_lo, exec_lo, s11
	v_dual_add_nc_u32 v8, 1, v5 :: v_dual_cndmask_b32 v3, v3, v5, s10
	s_delay_alu instid0(VALU_DEP_1) | instskip(NEXT) | instid1(VALU_DEP_1)
	v_cndmask_b32_e64 v6, v8, v6, s10
	v_cmp_ge_i32_e64 s7, v6, v3
	s_or_b32 s9, s7, s9
	s_delay_alu instid0(SALU_CYCLE_1)
	s_and_not1_b32 exec_lo, exec_lo, s9
	s_cbranch_execz .LBB2_239
.LBB2_236:                              ; =>This Inner Loop Header: Depth=1
	v_sub_nc_u32_e32 v5, v3, v6
	s_or_b32 s10, s10, exec_lo
	s_mov_b32 s11, exec_lo
	s_delay_alu instid0(VALU_DEP_1) | instskip(NEXT) | instid1(VALU_DEP_1)
	v_lshrrev_b32_e32 v5, 1, v5
	v_add_nc_u32_e32 v5, v5, v6
	s_delay_alu instid0(VALU_DEP_1) | instskip(SKIP_1) | instid1(VALU_DEP_2)
	v_not_b32_e32 v9, v5
	v_lshl_add_u32 v8, v5, 3, v2
	v_lshl_add_u32 v9, v9, 3, v4
	ds_load_b32 v10, v8
	ds_load_b32 v11, v9
	s_wait_dscnt 0x0
	v_cmpx_nlt_f32_e32 v11, v10
	s_cbranch_execz .LBB2_235
; %bb.237:                              ;   in Loop: Header=BB2_236 Depth=1
	s_mov_b32 s12, 0
	s_mov_b32 s13, exec_lo
	v_cmpx_eq_f32_e32 v11, v10
	s_cbranch_execz .LBB2_234
; %bb.238:                              ;   in Loop: Header=BB2_236 Depth=1
	ds_load_b32 v9, v9 offset:4
	ds_load_b32 v8, v8 offset:4
	s_wait_dscnt 0x0
	v_cmp_lt_f32_e64 s7, v9, v8
	s_and_b32 s12, s7, exec_lo
	s_branch .LBB2_234
.LBB2_239:
	s_or_b32 exec_lo, exec_lo, s9
.LBB2_240:
	s_delay_alu instid0(SALU_CYCLE_1) | instskip(SKIP_2) | instid1(VALU_DEP_2)
	s_or_b32 exec_lo, exec_lo, s8
	v_add_nc_u32_e32 v3, v38, v7
	v_lshl_add_u32 v8, v6, 3, v2
	v_sub_nc_u32_e32 v10, v3, v6
	s_delay_alu instid0(VALU_DEP_1) | instskip(SKIP_4) | instid1(SALU_CYCLE_1)
	v_lshl_add_u32 v11, v10, 3, v36
	v_cmp_le_i32_e64 s7, v39, v10
	ds_load_b64 v[2:3], v8
	ds_load_b64 v[4:5], v11
	s_and_saveexec_b32 s8, s7
	s_xor_b32 s7, exec_lo, s8
	s_delay_alu instid0(SALU_CYCLE_1)
	s_or_saveexec_b32 s10, s7
	v_add_nc_u32_e32 v12, v6, v26
	s_mov_b32 s9, 0
	s_xor_b32 exec_lo, exec_lo, s10
	s_cbranch_execz .LBB2_246
; %bb.241:
	s_delay_alu instid0(VALU_DEP_1)
	v_cmp_gt_i32_e64 s7, v38, v12
	s_wait_dscnt 0x0
	v_cmp_nlt_f32_e64 s8, v4, v2
	s_and_b32 s9, s7, s8
	s_mov_b32 s7, -1
	s_and_saveexec_b32 s8, s9
	s_cbranch_execz .LBB2_245
; %bb.242:
	s_mov_b32 s9, 0
	s_mov_b32 s11, exec_lo
	v_cmpx_eq_f32_e32 v4, v2
; %bb.243:
	v_cmp_lt_f32_e64 s7, v5, v3
	s_and_b32 s9, s7, exec_lo
; %bb.244:
	s_or_b32 exec_lo, exec_lo, s11
	s_delay_alu instid0(SALU_CYCLE_1)
	s_or_not1_b32 s7, s9, exec_lo
.LBB2_245:
	s_or_b32 exec_lo, exec_lo, s8
	s_delay_alu instid0(SALU_CYCLE_1)
	s_and_b32 s9, s7, exec_lo
.LBB2_246:
	s_or_b32 exec_lo, exec_lo, s10
	s_xor_b32 s7, s9, -1
                                        ; implicit-def: $vgpr6_vgpr7
	s_delay_alu instid0(SALU_CYCLE_1) | instskip(NEXT) | instid1(SALU_CYCLE_1)
	s_and_saveexec_b32 s8, s7
	s_xor_b32 s7, exec_lo, s8
; %bb.247:
	ds_load_b64 v[6:7], v8 offset:8
                                        ; implicit-def: $vgpr11
; %bb.248:
	s_or_saveexec_b32 s7, s7
	s_wait_dscnt 0x0
	v_mov_b64_e32 v[8:9], v[4:5]
	s_xor_b32 exec_lo, exec_lo, s7
; %bb.249:
	ds_load_b64 v[8:9], v11 offset:8
	v_mov_b64_e32 v[6:7], v[2:3]
; %bb.250:
	s_or_b32 exec_lo, exec_lo, s7
	v_dual_add_nc_u32 v11, 1, v10 :: v_dual_add_nc_u32 v13, 1, v12
	s_mov_b32 s10, 0
	s_mov_b32 s11, exec_lo
	s_delay_alu instid0(VALU_DEP_1) | instskip(NEXT) | instid1(VALU_DEP_1)
	v_dual_cndmask_b32 v15, v10, v11, s9 :: v_dual_cndmask_b32 v14, v13, v12, s9
	v_cmpx_lt_i32_e64 v15, v39
	s_cbranch_execz .LBB2_256
; %bb.251:
	s_delay_alu instid0(VALU_DEP_2)
	v_cmp_lt_i32_e64 s7, v14, v38
	s_wait_dscnt 0x0
	v_cmp_nlt_f32_e64 s8, v8, v6
	s_and_b32 s10, s7, s8
	s_mov_b32 s7, -1
	s_and_saveexec_b32 s8, s10
	s_cbranch_execz .LBB2_255
; %bb.252:
	s_mov_b32 s10, 0
	s_mov_b32 s12, exec_lo
	v_cmpx_eq_f32_e32 v8, v6
; %bb.253:
	v_cmp_lt_f32_e64 s7, v9, v7
	s_and_b32 s10, s7, exec_lo
; %bb.254:
	s_or_b32 exec_lo, exec_lo, s12
	s_delay_alu instid0(SALU_CYCLE_1)
	s_or_not1_b32 s7, s10, exec_lo
.LBB2_255:
	s_or_b32 exec_lo, exec_lo, s8
	s_delay_alu instid0(SALU_CYCLE_1)
	s_and_b32 s10, s7, exec_lo
.LBB2_256:
	s_or_b32 exec_lo, exec_lo, s11
	s_xor_b32 s7, s10, -1
                                        ; implicit-def: $vgpr10_vgpr11
	s_delay_alu instid0(SALU_CYCLE_1) | instskip(NEXT) | instid1(SALU_CYCLE_1)
	s_and_saveexec_b32 s8, s7
	s_xor_b32 s7, exec_lo, s8
; %bb.257:
	v_lshl_add_u32 v10, v14, 3, v36
	ds_load_b64 v[10:11], v10 offset:8
; %bb.258:
	s_or_saveexec_b32 s7, s7
	s_wait_dscnt 0x0
	v_mov_b64_e32 v[12:13], v[8:9]
	s_xor_b32 exec_lo, exec_lo, s7
; %bb.259:
	v_lshl_add_u32 v10, v15, 3, v36
	ds_load_b64 v[12:13], v10 offset:8
	v_mov_b64_e32 v[10:11], v[6:7]
; %bb.260:
	s_or_b32 exec_lo, exec_lo, s7
	v_add_nc_u32_e32 v16, 1, v15
	s_delay_alu instid0(VALU_DEP_1) | instskip(NEXT) | instid1(VALU_DEP_1)
	v_dual_cndmask_b32 v18, v15, v16, s10 :: v_dual_add_nc_u32 v15, 1, v14
	v_cmp_ge_i32_e64 s7, v18, v39
	s_and_saveexec_b32 s8, s7
	s_delay_alu instid0(SALU_CYCLE_1) | instskip(NEXT) | instid1(SALU_CYCLE_1)
	s_xor_b32 s7, exec_lo, s8
	s_or_saveexec_b32 s12, s7
	v_cndmask_b32_e64 v19, v15, v14, s10
	s_mov_b32 s11, 0
	s_xor_b32 exec_lo, exec_lo, s12
	s_cbranch_execz .LBB2_266
; %bb.261:
	s_delay_alu instid0(VALU_DEP_1)
	v_cmp_lt_i32_e64 s7, v19, v38
	s_wait_dscnt 0x0
	v_cmp_nlt_f32_e64 s8, v12, v10
	s_and_b32 s11, s7, s8
	s_mov_b32 s7, -1
	s_and_saveexec_b32 s8, s11
	s_cbranch_execz .LBB2_265
; %bb.262:
	s_mov_b32 s11, 0
	s_mov_b32 s13, exec_lo
	v_cmpx_eq_f32_e32 v12, v10
; %bb.263:
	v_cmp_lt_f32_e64 s7, v13, v11
	s_and_b32 s11, s7, exec_lo
; %bb.264:
	s_or_b32 exec_lo, exec_lo, s13
	s_delay_alu instid0(SALU_CYCLE_1)
	s_or_not1_b32 s7, s11, exec_lo
.LBB2_265:
	s_or_b32 exec_lo, exec_lo, s8
	s_delay_alu instid0(SALU_CYCLE_1)
	s_and_b32 s11, s7, exec_lo
.LBB2_266:
	s_or_b32 exec_lo, exec_lo, s12
	s_xor_b32 s7, s11, -1
                                        ; implicit-def: $vgpr14_vgpr15
	s_delay_alu instid0(SALU_CYCLE_1) | instskip(NEXT) | instid1(SALU_CYCLE_1)
	s_and_saveexec_b32 s8, s7
	s_xor_b32 s7, exec_lo, s8
; %bb.267:
	v_lshl_add_u32 v14, v19, 3, v36
	ds_load_b64 v[14:15], v14 offset:8
; %bb.268:
	s_or_saveexec_b32 s7, s7
	s_wait_dscnt 0x0
	v_mov_b64_e32 v[16:17], v[12:13]
	s_xor_b32 exec_lo, exec_lo, s7
; %bb.269:
	v_lshl_add_u32 v14, v18, 3, v36
	ds_load_b64 v[16:17], v14 offset:8
	v_mov_b64_e32 v[14:15], v[10:11]
; %bb.270:
	s_or_b32 exec_lo, exec_lo, s7
	v_dual_add_nc_u32 v20, 1, v18 :: v_dual_add_nc_u32 v21, 1, v19
	s_mov_b32 s12, 0
	s_mov_b32 s13, exec_lo
	s_delay_alu instid0(VALU_DEP_1) | instskip(NEXT) | instid1(VALU_DEP_1)
	v_dual_cndmask_b32 v23, v18, v20, s11 :: v_dual_cndmask_b32 v22, v21, v19, s11
	v_cmpx_lt_i32_e64 v23, v39
	s_cbranch_execz .LBB2_276
; %bb.271:
	s_delay_alu instid0(VALU_DEP_2)
	v_cmp_lt_i32_e64 s7, v22, v38
	s_wait_dscnt 0x0
	v_cmp_nlt_f32_e64 s8, v16, v14
	s_and_b32 s12, s7, s8
	s_mov_b32 s7, -1
	s_and_saveexec_b32 s8, s12
	s_cbranch_execz .LBB2_275
; %bb.272:
	s_mov_b32 s12, 0
	s_mov_b32 s14, exec_lo
	v_cmpx_eq_f32_e32 v16, v14
; %bb.273:
	v_cmp_lt_f32_e64 s7, v17, v15
	s_and_b32 s12, s7, exec_lo
; %bb.274:
	s_or_b32 exec_lo, exec_lo, s14
	s_delay_alu instid0(SALU_CYCLE_1)
	s_or_not1_b32 s7, s12, exec_lo
.LBB2_275:
	s_or_b32 exec_lo, exec_lo, s8
	s_delay_alu instid0(SALU_CYCLE_1)
	s_and_b32 s12, s7, exec_lo
.LBB2_276:
	s_or_b32 exec_lo, exec_lo, s13
	s_xor_b32 s7, s12, -1
                                        ; implicit-def: $vgpr18_vgpr19
	s_delay_alu instid0(SALU_CYCLE_1) | instskip(NEXT) | instid1(SALU_CYCLE_1)
	s_and_saveexec_b32 s8, s7
	s_xor_b32 s7, exec_lo, s8
; %bb.277:
	v_lshl_add_u32 v18, v22, 3, v36
	ds_load_b64 v[18:19], v18 offset:8
; %bb.278:
	s_or_saveexec_b32 s7, s7
	s_wait_dscnt 0x0
	v_mov_b64_e32 v[20:21], v[16:17]
	s_xor_b32 exec_lo, exec_lo, s7
; %bb.279:
	v_lshl_add_u32 v18, v23, 3, v36
	ds_load_b64 v[20:21], v18 offset:8
	v_mov_b64_e32 v[18:19], v[14:15]
; %bb.280:
	s_or_b32 exec_lo, exec_lo, s7
	v_add_nc_u32_e32 v24, 1, v23
	s_delay_alu instid0(VALU_DEP_1) | instskip(NEXT) | instid1(VALU_DEP_1)
	v_dual_cndmask_b32 v26, v23, v24, s12 :: v_dual_add_nc_u32 v23, 1, v22
	v_cmp_ge_i32_e64 s7, v26, v39
	s_and_saveexec_b32 s8, s7
	s_delay_alu instid0(SALU_CYCLE_1) | instskip(NEXT) | instid1(SALU_CYCLE_1)
	s_xor_b32 s7, exec_lo, s8
	s_or_saveexec_b32 s14, s7
	v_cndmask_b32_e64 v27, v23, v22, s12
	s_mov_b32 s13, 0
	s_xor_b32 exec_lo, exec_lo, s14
	s_cbranch_execz .LBB2_286
; %bb.281:
	s_delay_alu instid0(VALU_DEP_1)
	v_cmp_lt_i32_e64 s7, v27, v38
	s_wait_dscnt 0x0
	v_cmp_nlt_f32_e64 s8, v20, v18
	s_and_b32 s13, s7, s8
	s_mov_b32 s7, -1
	s_and_saveexec_b32 s8, s13
	s_cbranch_execz .LBB2_285
; %bb.282:
	s_mov_b32 s13, 0
	s_mov_b32 s15, exec_lo
	v_cmpx_eq_f32_e32 v20, v18
; %bb.283:
	v_cmp_lt_f32_e64 s7, v21, v19
	s_and_b32 s13, s7, exec_lo
; %bb.284:
	s_or_b32 exec_lo, exec_lo, s15
	s_delay_alu instid0(SALU_CYCLE_1)
	s_or_not1_b32 s7, s13, exec_lo
.LBB2_285:
	s_or_b32 exec_lo, exec_lo, s8
	s_delay_alu instid0(SALU_CYCLE_1)
	s_and_b32 s13, s7, exec_lo
.LBB2_286:
	s_or_b32 exec_lo, exec_lo, s14
	s_xor_b32 s7, s13, -1
                                        ; implicit-def: $vgpr22_vgpr23
	s_delay_alu instid0(SALU_CYCLE_1) | instskip(NEXT) | instid1(SALU_CYCLE_1)
	s_and_saveexec_b32 s8, s7
	s_xor_b32 s7, exec_lo, s8
; %bb.287:
	v_lshl_add_u32 v22, v27, 3, v36
	ds_load_b64 v[22:23], v22 offset:8
; %bb.288:
	s_or_saveexec_b32 s7, s7
	s_wait_dscnt 0x0
	v_mov_b64_e32 v[24:25], v[20:21]
	s_xor_b32 exec_lo, exec_lo, s7
; %bb.289:
	v_lshl_add_u32 v22, v26, 3, v36
	ds_load_b64 v[24:25], v22 offset:8
	v_mov_b64_e32 v[22:23], v[18:19]
; %bb.290:
	s_or_b32 exec_lo, exec_lo, s7
	v_dual_add_nc_u32 v28, 1, v26 :: v_dual_add_nc_u32 v29, 1, v27
	s_mov_b32 s14, 0
	s_mov_b32 s15, exec_lo
	s_delay_alu instid0(VALU_DEP_1) | instskip(NEXT) | instid1(VALU_DEP_1)
	v_dual_cndmask_b32 v31, v26, v28, s13 :: v_dual_cndmask_b32 v30, v29, v27, s13
	v_cmpx_lt_i32_e64 v31, v39
	s_cbranch_execz .LBB2_296
; %bb.291:
	s_delay_alu instid0(VALU_DEP_2)
	v_cmp_lt_i32_e64 s7, v30, v38
	s_wait_dscnt 0x0
	v_cmp_nlt_f32_e64 s8, v24, v22
	s_and_b32 s14, s7, s8
	s_mov_b32 s7, -1
	s_and_saveexec_b32 s8, s14
	s_cbranch_execz .LBB2_295
; %bb.292:
	s_mov_b32 s14, 0
	s_mov_b32 s16, exec_lo
	v_cmpx_eq_f32_e32 v24, v22
; %bb.293:
	v_cmp_lt_f32_e64 s7, v25, v23
	s_and_b32 s14, s7, exec_lo
; %bb.294:
	s_or_b32 exec_lo, exec_lo, s16
	s_delay_alu instid0(SALU_CYCLE_1)
	s_or_not1_b32 s7, s14, exec_lo
.LBB2_295:
	s_or_b32 exec_lo, exec_lo, s8
	s_delay_alu instid0(SALU_CYCLE_1)
	s_and_b32 s14, s7, exec_lo
.LBB2_296:
	s_or_b32 exec_lo, exec_lo, s15
	s_xor_b32 s7, s14, -1
                                        ; implicit-def: $vgpr26_vgpr27
	s_delay_alu instid0(SALU_CYCLE_1) | instskip(NEXT) | instid1(SALU_CYCLE_1)
	s_and_saveexec_b32 s8, s7
	s_xor_b32 s7, exec_lo, s8
; %bb.297:
	v_lshl_add_u32 v26, v30, 3, v36
	ds_load_b64 v[26:27], v26 offset:8
; %bb.298:
	s_or_saveexec_b32 s7, s7
	s_wait_dscnt 0x0
	v_mov_b64_e32 v[28:29], v[24:25]
	s_xor_b32 exec_lo, exec_lo, s7
; %bb.299:
	v_lshl_add_u32 v26, v31, 3, v36
	ds_load_b64 v[28:29], v26 offset:8
	v_mov_b64_e32 v[26:27], v[22:23]
; %bb.300:
	s_or_b32 exec_lo, exec_lo, s7
	v_add_nc_u32_e32 v32, 1, v31
	s_delay_alu instid0(VALU_DEP_1) | instskip(NEXT) | instid1(VALU_DEP_1)
	v_dual_cndmask_b32 v40, v31, v32, s14 :: v_dual_add_nc_u32 v31, 1, v30
	v_cmp_ge_i32_e64 s7, v40, v39
	s_and_saveexec_b32 s8, s7
	s_delay_alu instid0(SALU_CYCLE_1) | instskip(NEXT) | instid1(SALU_CYCLE_1)
	s_xor_b32 s7, exec_lo, s8
	s_or_saveexec_b32 s16, s7
	v_cndmask_b32_e64 v41, v31, v30, s14
	s_mov_b32 s15, 0
	s_xor_b32 exec_lo, exec_lo, s16
	s_cbranch_execz .LBB2_306
; %bb.301:
	s_delay_alu instid0(VALU_DEP_1)
	v_cmp_lt_i32_e64 s7, v41, v38
	s_wait_dscnt 0x0
	v_cmp_nlt_f32_e64 s8, v28, v26
	s_and_b32 s15, s7, s8
	s_mov_b32 s7, -1
	s_and_saveexec_b32 s8, s15
	s_cbranch_execz .LBB2_305
; %bb.302:
	s_mov_b32 s15, 0
	s_mov_b32 s17, exec_lo
	v_cmpx_eq_f32_e32 v28, v26
; %bb.303:
	v_cmp_lt_f32_e64 s7, v29, v27
	s_and_b32 s15, s7, exec_lo
; %bb.304:
	s_or_b32 exec_lo, exec_lo, s17
	s_delay_alu instid0(SALU_CYCLE_1)
	s_or_not1_b32 s7, s15, exec_lo
.LBB2_305:
	s_or_b32 exec_lo, exec_lo, s8
	s_delay_alu instid0(SALU_CYCLE_1)
	s_and_b32 s15, s7, exec_lo
.LBB2_306:
	s_or_b32 exec_lo, exec_lo, s16
	s_xor_b32 s7, s15, -1
                                        ; implicit-def: $vgpr30_vgpr31
	s_delay_alu instid0(SALU_CYCLE_1) | instskip(NEXT) | instid1(SALU_CYCLE_1)
	s_and_saveexec_b32 s8, s7
	s_xor_b32 s7, exec_lo, s8
; %bb.307:
	v_lshl_add_u32 v30, v41, 3, v36
	ds_load_b64 v[30:31], v30 offset:8
; %bb.308:
	s_or_saveexec_b32 s7, s7
	s_wait_dscnt 0x0
	v_mov_b64_e32 v[32:33], v[28:29]
	s_xor_b32 exec_lo, exec_lo, s7
; %bb.309:
	v_lshl_add_u32 v30, v40, 3, v36
	ds_load_b64 v[32:33], v30 offset:8
	v_mov_b64_e32 v[30:31], v[26:27]
; %bb.310:
	s_or_b32 exec_lo, exec_lo, s7
	v_add_nc_u32_e32 v42, 1, v40
	s_mov_b32 s8, 0
	s_mov_b32 s16, exec_lo
	s_delay_alu instid0(VALU_DEP_1) | instskip(NEXT) | instid1(VALU_DEP_1)
	v_cndmask_b32_e64 v40, v40, v42, s15
	v_cmpx_lt_i32_e64 v40, v39
	s_cbranch_execz .LBB2_316
; %bb.311:
	v_add_nc_u32_e32 v39, 1, v41
	s_wait_dscnt 0x0
	v_cmp_nlt_f32_e64 s7, v32, v30
	s_delay_alu instid0(VALU_DEP_2) | instskip(NEXT) | instid1(VALU_DEP_1)
	v_cndmask_b32_e64 v39, v39, v41, s15
	v_cmp_lt_i32_e64 s8, v39, v38
	s_and_b32 s17, s8, s7
	s_mov_b32 s7, -1
	s_and_saveexec_b32 s8, s17
	s_cbranch_execz .LBB2_315
; %bb.312:
	s_mov_b32 s17, 0
	s_mov_b32 s18, exec_lo
	v_cmpx_eq_f32_e32 v32, v30
; %bb.313:
	v_cmp_lt_f32_e64 s7, v33, v31
	s_and_b32 s17, s7, exec_lo
; %bb.314:
	s_or_b32 exec_lo, exec_lo, s18
	s_delay_alu instid0(SALU_CYCLE_1)
	s_or_not1_b32 s7, s17, exec_lo
.LBB2_315:
	s_or_b32 exec_lo, exec_lo, s8
	s_delay_alu instid0(SALU_CYCLE_1)
	s_and_b32 s8, s7, exec_lo
.LBB2_316:
	s_or_b32 exec_lo, exec_lo, s16
	v_and_b32_e32 v38, 0xc0, v35
	v_dual_cndmask_b32 v28, v26, v28, s15 :: v_dual_cndmask_b32 v29, v27, v29, s15
	v_dual_cndmask_b32 v14, v14, v16, s12 :: v_dual_bitop2_b32 v16, 56, v35 bitop3:0x40
	s_delay_alu instid0(VALU_DEP_3) | instskip(SKIP_2) | instid1(VALU_DEP_3)
	v_dual_cndmask_b32 v23, v23, v25, s14 :: v_dual_min_i32 v26, v34, v38
	v_dual_cndmask_b32 v9, v7, v9, s10 :: v_dual_cndmask_b32 v10, v10, v12, s11
	v_cndmask_b32_e64 v11, v11, v13, s11
	v_add_min_i32_e64 v38, v26, 32, v34
	v_min_i32_e32 v7, v34, v16
	v_dual_cndmask_b32 v4, v2, v4, s9 :: v_dual_cndmask_b32 v5, v3, v5, s9
	s_wait_dscnt 0x0
	s_delay_alu instid0(VALU_DEP_3) | instskip(SKIP_3) | instid1(VALU_DEP_3)
	v_dual_cndmask_b32 v13, v31, v33, s8 :: v_dual_sub_nc_u32 v3, v38, v26
	v_add_min_i32_e64 v39, v38, 32, v34
	v_dual_cndmask_b32 v22, v22, v24, s14 :: v_dual_cndmask_b32 v19, v19, v21, s13
	v_dual_cndmask_b32 v18, v18, v20, s13 :: v_dual_cndmask_b32 v15, v15, v17, s12
	v_dual_sub_nc_u32 v16, v39, v38 :: v_dual_cndmask_b32 v8, v6, v8, s10
	; wave barrier
	s_delay_alu instid0(VALU_DEP_1)
	v_dual_sub_nc_u32 v2, v7, v16 :: v_dual_min_i32 v3, v7, v3
	v_cmp_ge_i32_e64 s7, v7, v16
	v_cndmask_b32_e64 v12, v30, v32, s8
	s_mov_b32 s8, exec_lo
	ds_store_2addr_b64 v37, v[4:5], v[8:9] offset1:1
	ds_store_2addr_b64 v37, v[10:11], v[14:15] offset0:2 offset1:3
	v_cndmask_b32_e64 v6, 0, v2, s7
	v_lshl_add_u32 v2, v26, 3, v36
	ds_store_2addr_b64 v37, v[18:19], v[22:23] offset0:4 offset1:5
	ds_store_2addr_b64 v37, v[28:29], v[12:13] offset0:6 offset1:7
	; wave barrier
	v_cmpx_lt_i32_e64 v6, v3
	s_cbranch_execz .LBB2_324
; %bb.317:
	v_dual_lshlrev_b32 v4, 3, v38 :: v_dual_lshlrev_b32 v5, 3, v7
	s_mov_b32 s9, 0
                                        ; implicit-def: $sgpr10
	s_delay_alu instid0(VALU_DEP_1)
	v_add3_u32 v4, v36, v4, v5
	s_branch .LBB2_320
.LBB2_318:                              ;   in Loop: Header=BB2_320 Depth=1
	s_or_b32 exec_lo, exec_lo, s13
	s_delay_alu instid0(SALU_CYCLE_1) | instskip(SKIP_1) | instid1(SALU_CYCLE_1)
	s_and_not1_b32 s7, s10, exec_lo
	s_and_b32 s10, s12, exec_lo
	s_or_b32 s10, s7, s10
.LBB2_319:                              ;   in Loop: Header=BB2_320 Depth=1
	s_or_b32 exec_lo, exec_lo, s11
	v_dual_add_nc_u32 v8, 1, v5 :: v_dual_cndmask_b32 v3, v3, v5, s10
	s_delay_alu instid0(VALU_DEP_1) | instskip(NEXT) | instid1(VALU_DEP_1)
	v_cndmask_b32_e64 v6, v8, v6, s10
	v_cmp_ge_i32_e64 s7, v6, v3
	s_or_b32 s9, s7, s9
	s_delay_alu instid0(SALU_CYCLE_1)
	s_and_not1_b32 exec_lo, exec_lo, s9
	s_cbranch_execz .LBB2_323
.LBB2_320:                              ; =>This Inner Loop Header: Depth=1
	v_sub_nc_u32_e32 v5, v3, v6
	s_or_b32 s10, s10, exec_lo
	s_mov_b32 s11, exec_lo
	s_delay_alu instid0(VALU_DEP_1) | instskip(NEXT) | instid1(VALU_DEP_1)
	v_lshrrev_b32_e32 v5, 1, v5
	v_add_nc_u32_e32 v5, v5, v6
	s_delay_alu instid0(VALU_DEP_1) | instskip(SKIP_1) | instid1(VALU_DEP_2)
	v_not_b32_e32 v9, v5
	v_lshl_add_u32 v8, v5, 3, v2
	v_lshl_add_u32 v9, v9, 3, v4
	ds_load_b32 v10, v8
	ds_load_b32 v11, v9
	s_wait_dscnt 0x0
	v_cmpx_nlt_f32_e32 v11, v10
	s_cbranch_execz .LBB2_319
; %bb.321:                              ;   in Loop: Header=BB2_320 Depth=1
	s_mov_b32 s12, 0
	s_mov_b32 s13, exec_lo
	v_cmpx_eq_f32_e32 v11, v10
	s_cbranch_execz .LBB2_318
; %bb.322:                              ;   in Loop: Header=BB2_320 Depth=1
	ds_load_b32 v9, v9 offset:4
	ds_load_b32 v8, v8 offset:4
	s_wait_dscnt 0x0
	v_cmp_lt_f32_e64 s7, v9, v8
	s_and_b32 s12, s7, exec_lo
	s_branch .LBB2_318
.LBB2_323:
	s_or_b32 exec_lo, exec_lo, s9
.LBB2_324:
	s_delay_alu instid0(SALU_CYCLE_1) | instskip(SKIP_2) | instid1(VALU_DEP_2)
	s_or_b32 exec_lo, exec_lo, s8
	v_add_nc_u32_e32 v3, v38, v7
	v_lshl_add_u32 v8, v6, 3, v2
	v_sub_nc_u32_e32 v10, v3, v6
	s_delay_alu instid0(VALU_DEP_1) | instskip(SKIP_4) | instid1(SALU_CYCLE_1)
	v_lshl_add_u32 v11, v10, 3, v36
	v_cmp_le_i32_e64 s7, v39, v10
	ds_load_b64 v[2:3], v8
	ds_load_b64 v[4:5], v11
	s_and_saveexec_b32 s8, s7
	s_xor_b32 s7, exec_lo, s8
	s_delay_alu instid0(SALU_CYCLE_1)
	s_or_saveexec_b32 s10, s7
	v_add_nc_u32_e32 v12, v6, v26
	s_mov_b32 s9, 0
	s_xor_b32 exec_lo, exec_lo, s10
	s_cbranch_execz .LBB2_330
; %bb.325:
	s_delay_alu instid0(VALU_DEP_1)
	v_cmp_gt_i32_e64 s7, v38, v12
	s_wait_dscnt 0x0
	v_cmp_nlt_f32_e64 s8, v4, v2
	s_and_b32 s9, s7, s8
	s_mov_b32 s7, -1
	s_and_saveexec_b32 s8, s9
	s_cbranch_execz .LBB2_329
; %bb.326:
	s_mov_b32 s9, 0
	s_mov_b32 s11, exec_lo
	v_cmpx_eq_f32_e32 v4, v2
; %bb.327:
	v_cmp_lt_f32_e64 s7, v5, v3
	s_and_b32 s9, s7, exec_lo
; %bb.328:
	s_or_b32 exec_lo, exec_lo, s11
	s_delay_alu instid0(SALU_CYCLE_1)
	s_or_not1_b32 s7, s9, exec_lo
.LBB2_329:
	s_or_b32 exec_lo, exec_lo, s8
	s_delay_alu instid0(SALU_CYCLE_1)
	s_and_b32 s9, s7, exec_lo
.LBB2_330:
	s_or_b32 exec_lo, exec_lo, s10
	s_xor_b32 s7, s9, -1
                                        ; implicit-def: $vgpr6_vgpr7
	s_delay_alu instid0(SALU_CYCLE_1) | instskip(NEXT) | instid1(SALU_CYCLE_1)
	s_and_saveexec_b32 s8, s7
	s_xor_b32 s7, exec_lo, s8
; %bb.331:
	ds_load_b64 v[6:7], v8 offset:8
                                        ; implicit-def: $vgpr11
; %bb.332:
	s_or_saveexec_b32 s7, s7
	s_wait_dscnt 0x0
	v_mov_b64_e32 v[8:9], v[4:5]
	s_xor_b32 exec_lo, exec_lo, s7
; %bb.333:
	ds_load_b64 v[8:9], v11 offset:8
	v_mov_b64_e32 v[6:7], v[2:3]
; %bb.334:
	s_or_b32 exec_lo, exec_lo, s7
	v_dual_add_nc_u32 v11, 1, v10 :: v_dual_add_nc_u32 v13, 1, v12
	s_mov_b32 s10, 0
	s_mov_b32 s11, exec_lo
	s_delay_alu instid0(VALU_DEP_1) | instskip(NEXT) | instid1(VALU_DEP_1)
	v_dual_cndmask_b32 v15, v10, v11, s9 :: v_dual_cndmask_b32 v14, v13, v12, s9
	v_cmpx_lt_i32_e64 v15, v39
	s_cbranch_execz .LBB2_340
; %bb.335:
	s_delay_alu instid0(VALU_DEP_2)
	v_cmp_lt_i32_e64 s7, v14, v38
	s_wait_dscnt 0x0
	v_cmp_nlt_f32_e64 s8, v8, v6
	s_and_b32 s10, s7, s8
	s_mov_b32 s7, -1
	s_and_saveexec_b32 s8, s10
	s_cbranch_execz .LBB2_339
; %bb.336:
	s_mov_b32 s10, 0
	s_mov_b32 s12, exec_lo
	v_cmpx_eq_f32_e32 v8, v6
; %bb.337:
	v_cmp_lt_f32_e64 s7, v9, v7
	s_and_b32 s10, s7, exec_lo
; %bb.338:
	s_or_b32 exec_lo, exec_lo, s12
	s_delay_alu instid0(SALU_CYCLE_1)
	s_or_not1_b32 s7, s10, exec_lo
.LBB2_339:
	s_or_b32 exec_lo, exec_lo, s8
	s_delay_alu instid0(SALU_CYCLE_1)
	s_and_b32 s10, s7, exec_lo
.LBB2_340:
	s_or_b32 exec_lo, exec_lo, s11
	s_xor_b32 s7, s10, -1
                                        ; implicit-def: $vgpr10_vgpr11
	s_delay_alu instid0(SALU_CYCLE_1) | instskip(NEXT) | instid1(SALU_CYCLE_1)
	s_and_saveexec_b32 s8, s7
	s_xor_b32 s7, exec_lo, s8
; %bb.341:
	v_lshl_add_u32 v10, v14, 3, v36
	ds_load_b64 v[10:11], v10 offset:8
; %bb.342:
	s_or_saveexec_b32 s7, s7
	s_wait_dscnt 0x0
	v_mov_b64_e32 v[12:13], v[8:9]
	s_xor_b32 exec_lo, exec_lo, s7
; %bb.343:
	v_lshl_add_u32 v10, v15, 3, v36
	ds_load_b64 v[12:13], v10 offset:8
	v_mov_b64_e32 v[10:11], v[6:7]
; %bb.344:
	s_or_b32 exec_lo, exec_lo, s7
	v_add_nc_u32_e32 v16, 1, v15
	s_delay_alu instid0(VALU_DEP_1) | instskip(NEXT) | instid1(VALU_DEP_1)
	v_dual_cndmask_b32 v18, v15, v16, s10 :: v_dual_add_nc_u32 v15, 1, v14
	v_cmp_ge_i32_e64 s7, v18, v39
	s_and_saveexec_b32 s8, s7
	s_delay_alu instid0(SALU_CYCLE_1) | instskip(NEXT) | instid1(SALU_CYCLE_1)
	s_xor_b32 s7, exec_lo, s8
	s_or_saveexec_b32 s12, s7
	v_cndmask_b32_e64 v19, v15, v14, s10
	s_mov_b32 s11, 0
	s_xor_b32 exec_lo, exec_lo, s12
	s_cbranch_execz .LBB2_350
; %bb.345:
	s_delay_alu instid0(VALU_DEP_1)
	v_cmp_lt_i32_e64 s7, v19, v38
	s_wait_dscnt 0x0
	v_cmp_nlt_f32_e64 s8, v12, v10
	s_and_b32 s11, s7, s8
	s_mov_b32 s7, -1
	s_and_saveexec_b32 s8, s11
	s_cbranch_execz .LBB2_349
; %bb.346:
	s_mov_b32 s11, 0
	s_mov_b32 s13, exec_lo
	v_cmpx_eq_f32_e32 v12, v10
; %bb.347:
	v_cmp_lt_f32_e64 s7, v13, v11
	s_and_b32 s11, s7, exec_lo
; %bb.348:
	s_or_b32 exec_lo, exec_lo, s13
	s_delay_alu instid0(SALU_CYCLE_1)
	s_or_not1_b32 s7, s11, exec_lo
.LBB2_349:
	s_or_b32 exec_lo, exec_lo, s8
	s_delay_alu instid0(SALU_CYCLE_1)
	s_and_b32 s11, s7, exec_lo
.LBB2_350:
	s_or_b32 exec_lo, exec_lo, s12
	s_xor_b32 s7, s11, -1
                                        ; implicit-def: $vgpr14_vgpr15
	s_delay_alu instid0(SALU_CYCLE_1) | instskip(NEXT) | instid1(SALU_CYCLE_1)
	s_and_saveexec_b32 s8, s7
	s_xor_b32 s7, exec_lo, s8
; %bb.351:
	v_lshl_add_u32 v14, v19, 3, v36
	ds_load_b64 v[14:15], v14 offset:8
; %bb.352:
	s_or_saveexec_b32 s7, s7
	s_wait_dscnt 0x0
	v_mov_b64_e32 v[16:17], v[12:13]
	s_xor_b32 exec_lo, exec_lo, s7
; %bb.353:
	v_lshl_add_u32 v14, v18, 3, v36
	ds_load_b64 v[16:17], v14 offset:8
	v_mov_b64_e32 v[14:15], v[10:11]
; %bb.354:
	s_or_b32 exec_lo, exec_lo, s7
	v_dual_add_nc_u32 v20, 1, v18 :: v_dual_add_nc_u32 v21, 1, v19
	s_mov_b32 s12, 0
	s_mov_b32 s13, exec_lo
	s_delay_alu instid0(VALU_DEP_1) | instskip(NEXT) | instid1(VALU_DEP_1)
	v_dual_cndmask_b32 v23, v18, v20, s11 :: v_dual_cndmask_b32 v22, v21, v19, s11
	v_cmpx_lt_i32_e64 v23, v39
	s_cbranch_execz .LBB2_360
; %bb.355:
	s_delay_alu instid0(VALU_DEP_2)
	v_cmp_lt_i32_e64 s7, v22, v38
	s_wait_dscnt 0x0
	v_cmp_nlt_f32_e64 s8, v16, v14
	s_and_b32 s12, s7, s8
	s_mov_b32 s7, -1
	s_and_saveexec_b32 s8, s12
	s_cbranch_execz .LBB2_359
; %bb.356:
	s_mov_b32 s12, 0
	s_mov_b32 s14, exec_lo
	v_cmpx_eq_f32_e32 v16, v14
; %bb.357:
	v_cmp_lt_f32_e64 s7, v17, v15
	s_and_b32 s12, s7, exec_lo
; %bb.358:
	s_or_b32 exec_lo, exec_lo, s14
	s_delay_alu instid0(SALU_CYCLE_1)
	s_or_not1_b32 s7, s12, exec_lo
.LBB2_359:
	s_or_b32 exec_lo, exec_lo, s8
	s_delay_alu instid0(SALU_CYCLE_1)
	s_and_b32 s12, s7, exec_lo
.LBB2_360:
	s_or_b32 exec_lo, exec_lo, s13
	s_xor_b32 s7, s12, -1
                                        ; implicit-def: $vgpr18_vgpr19
	s_delay_alu instid0(SALU_CYCLE_1) | instskip(NEXT) | instid1(SALU_CYCLE_1)
	s_and_saveexec_b32 s8, s7
	s_xor_b32 s7, exec_lo, s8
; %bb.361:
	v_lshl_add_u32 v18, v22, 3, v36
	ds_load_b64 v[18:19], v18 offset:8
; %bb.362:
	s_or_saveexec_b32 s7, s7
	s_wait_dscnt 0x0
	v_mov_b64_e32 v[20:21], v[16:17]
	s_xor_b32 exec_lo, exec_lo, s7
; %bb.363:
	v_lshl_add_u32 v18, v23, 3, v36
	ds_load_b64 v[20:21], v18 offset:8
	v_mov_b64_e32 v[18:19], v[14:15]
; %bb.364:
	s_or_b32 exec_lo, exec_lo, s7
	v_add_nc_u32_e32 v24, 1, v23
	s_delay_alu instid0(VALU_DEP_1) | instskip(NEXT) | instid1(VALU_DEP_1)
	v_dual_cndmask_b32 v26, v23, v24, s12 :: v_dual_add_nc_u32 v23, 1, v22
	v_cmp_ge_i32_e64 s7, v26, v39
	s_and_saveexec_b32 s8, s7
	s_delay_alu instid0(SALU_CYCLE_1) | instskip(NEXT) | instid1(SALU_CYCLE_1)
	s_xor_b32 s7, exec_lo, s8
	s_or_saveexec_b32 s14, s7
	v_cndmask_b32_e64 v27, v23, v22, s12
	s_mov_b32 s13, 0
	s_xor_b32 exec_lo, exec_lo, s14
	s_cbranch_execz .LBB2_370
; %bb.365:
	s_delay_alu instid0(VALU_DEP_1)
	v_cmp_lt_i32_e64 s7, v27, v38
	s_wait_dscnt 0x0
	v_cmp_nlt_f32_e64 s8, v20, v18
	s_and_b32 s13, s7, s8
	s_mov_b32 s7, -1
	s_and_saveexec_b32 s8, s13
	s_cbranch_execz .LBB2_369
; %bb.366:
	s_mov_b32 s13, 0
	s_mov_b32 s15, exec_lo
	v_cmpx_eq_f32_e32 v20, v18
; %bb.367:
	v_cmp_lt_f32_e64 s7, v21, v19
	s_and_b32 s13, s7, exec_lo
; %bb.368:
	s_or_b32 exec_lo, exec_lo, s15
	s_delay_alu instid0(SALU_CYCLE_1)
	s_or_not1_b32 s7, s13, exec_lo
.LBB2_369:
	s_or_b32 exec_lo, exec_lo, s8
	s_delay_alu instid0(SALU_CYCLE_1)
	s_and_b32 s13, s7, exec_lo
.LBB2_370:
	s_or_b32 exec_lo, exec_lo, s14
	s_xor_b32 s7, s13, -1
                                        ; implicit-def: $vgpr22_vgpr23
	s_delay_alu instid0(SALU_CYCLE_1) | instskip(NEXT) | instid1(SALU_CYCLE_1)
	s_and_saveexec_b32 s8, s7
	s_xor_b32 s7, exec_lo, s8
; %bb.371:
	v_lshl_add_u32 v22, v27, 3, v36
	ds_load_b64 v[22:23], v22 offset:8
; %bb.372:
	s_or_saveexec_b32 s7, s7
	s_wait_dscnt 0x0
	v_mov_b64_e32 v[24:25], v[20:21]
	s_xor_b32 exec_lo, exec_lo, s7
; %bb.373:
	v_lshl_add_u32 v22, v26, 3, v36
	ds_load_b64 v[24:25], v22 offset:8
	v_mov_b64_e32 v[22:23], v[18:19]
; %bb.374:
	s_or_b32 exec_lo, exec_lo, s7
	v_dual_add_nc_u32 v28, 1, v26 :: v_dual_add_nc_u32 v29, 1, v27
	s_mov_b32 s14, 0
	s_mov_b32 s15, exec_lo
	s_delay_alu instid0(VALU_DEP_1) | instskip(NEXT) | instid1(VALU_DEP_1)
	v_dual_cndmask_b32 v31, v26, v28, s13 :: v_dual_cndmask_b32 v30, v29, v27, s13
	v_cmpx_lt_i32_e64 v31, v39
	s_cbranch_execz .LBB2_380
; %bb.375:
	s_delay_alu instid0(VALU_DEP_2)
	v_cmp_lt_i32_e64 s7, v30, v38
	s_wait_dscnt 0x0
	v_cmp_nlt_f32_e64 s8, v24, v22
	s_and_b32 s14, s7, s8
	s_mov_b32 s7, -1
	s_and_saveexec_b32 s8, s14
	s_cbranch_execz .LBB2_379
; %bb.376:
	s_mov_b32 s14, 0
	s_mov_b32 s16, exec_lo
	v_cmpx_eq_f32_e32 v24, v22
; %bb.377:
	v_cmp_lt_f32_e64 s7, v25, v23
	s_and_b32 s14, s7, exec_lo
; %bb.378:
	s_or_b32 exec_lo, exec_lo, s16
	s_delay_alu instid0(SALU_CYCLE_1)
	s_or_not1_b32 s7, s14, exec_lo
.LBB2_379:
	s_or_b32 exec_lo, exec_lo, s8
	s_delay_alu instid0(SALU_CYCLE_1)
	s_and_b32 s14, s7, exec_lo
.LBB2_380:
	s_or_b32 exec_lo, exec_lo, s15
	s_xor_b32 s7, s14, -1
                                        ; implicit-def: $vgpr26_vgpr27
	s_delay_alu instid0(SALU_CYCLE_1) | instskip(NEXT) | instid1(SALU_CYCLE_1)
	s_and_saveexec_b32 s8, s7
	s_xor_b32 s7, exec_lo, s8
; %bb.381:
	v_lshl_add_u32 v26, v30, 3, v36
	ds_load_b64 v[26:27], v26 offset:8
; %bb.382:
	s_or_saveexec_b32 s7, s7
	s_wait_dscnt 0x0
	v_mov_b64_e32 v[28:29], v[24:25]
	s_xor_b32 exec_lo, exec_lo, s7
; %bb.383:
	v_lshl_add_u32 v26, v31, 3, v36
	ds_load_b64 v[28:29], v26 offset:8
	v_mov_b64_e32 v[26:27], v[22:23]
; %bb.384:
	s_or_b32 exec_lo, exec_lo, s7
	v_add_nc_u32_e32 v32, 1, v31
	s_delay_alu instid0(VALU_DEP_1) | instskip(NEXT) | instid1(VALU_DEP_1)
	v_dual_cndmask_b32 v40, v31, v32, s14 :: v_dual_add_nc_u32 v31, 1, v30
	v_cmp_ge_i32_e64 s7, v40, v39
	s_and_saveexec_b32 s8, s7
	s_delay_alu instid0(SALU_CYCLE_1) | instskip(NEXT) | instid1(SALU_CYCLE_1)
	s_xor_b32 s7, exec_lo, s8
	s_or_saveexec_b32 s16, s7
	v_cndmask_b32_e64 v41, v31, v30, s14
	s_mov_b32 s15, 0
	s_xor_b32 exec_lo, exec_lo, s16
	s_cbranch_execz .LBB2_390
; %bb.385:
	s_delay_alu instid0(VALU_DEP_1)
	v_cmp_lt_i32_e64 s7, v41, v38
	s_wait_dscnt 0x0
	v_cmp_nlt_f32_e64 s8, v28, v26
	s_and_b32 s15, s7, s8
	s_mov_b32 s7, -1
	s_and_saveexec_b32 s8, s15
	s_cbranch_execz .LBB2_389
; %bb.386:
	s_mov_b32 s15, 0
	s_mov_b32 s17, exec_lo
	v_cmpx_eq_f32_e32 v28, v26
; %bb.387:
	v_cmp_lt_f32_e64 s7, v29, v27
	s_and_b32 s15, s7, exec_lo
; %bb.388:
	s_or_b32 exec_lo, exec_lo, s17
	s_delay_alu instid0(SALU_CYCLE_1)
	s_or_not1_b32 s7, s15, exec_lo
.LBB2_389:
	s_or_b32 exec_lo, exec_lo, s8
	s_delay_alu instid0(SALU_CYCLE_1)
	s_and_b32 s15, s7, exec_lo
.LBB2_390:
	s_or_b32 exec_lo, exec_lo, s16
	s_xor_b32 s7, s15, -1
                                        ; implicit-def: $vgpr30_vgpr31
	s_delay_alu instid0(SALU_CYCLE_1) | instskip(NEXT) | instid1(SALU_CYCLE_1)
	s_and_saveexec_b32 s8, s7
	s_xor_b32 s7, exec_lo, s8
; %bb.391:
	v_lshl_add_u32 v30, v41, 3, v36
	ds_load_b64 v[30:31], v30 offset:8
; %bb.392:
	s_or_saveexec_b32 s7, s7
	s_wait_dscnt 0x0
	v_mov_b64_e32 v[32:33], v[28:29]
	s_xor_b32 exec_lo, exec_lo, s7
; %bb.393:
	v_lshl_add_u32 v30, v40, 3, v36
	ds_load_b64 v[32:33], v30 offset:8
	v_mov_b64_e32 v[30:31], v[26:27]
; %bb.394:
	s_or_b32 exec_lo, exec_lo, s7
	v_add_nc_u32_e32 v42, 1, v40
	s_mov_b32 s8, 0
	s_mov_b32 s16, exec_lo
	s_delay_alu instid0(VALU_DEP_1) | instskip(NEXT) | instid1(VALU_DEP_1)
	v_cndmask_b32_e64 v40, v40, v42, s15
	v_cmpx_lt_i32_e64 v40, v39
	s_cbranch_execz .LBB2_400
; %bb.395:
	v_add_nc_u32_e32 v39, 1, v41
	s_wait_dscnt 0x0
	v_cmp_nlt_f32_e64 s7, v32, v30
	s_delay_alu instid0(VALU_DEP_2) | instskip(NEXT) | instid1(VALU_DEP_1)
	v_cndmask_b32_e64 v39, v39, v41, s15
	v_cmp_lt_i32_e64 s8, v39, v38
	s_and_b32 s17, s8, s7
	s_mov_b32 s7, -1
	s_and_saveexec_b32 s8, s17
	s_cbranch_execz .LBB2_399
; %bb.396:
	s_mov_b32 s17, 0
	s_mov_b32 s18, exec_lo
	v_cmpx_eq_f32_e32 v32, v30
; %bb.397:
	v_cmp_lt_f32_e64 s7, v33, v31
	s_and_b32 s17, s7, exec_lo
; %bb.398:
	s_or_b32 exec_lo, exec_lo, s18
	s_delay_alu instid0(SALU_CYCLE_1)
	s_or_not1_b32 s7, s17, exec_lo
.LBB2_399:
	s_or_b32 exec_lo, exec_lo, s8
	s_delay_alu instid0(SALU_CYCLE_1)
	s_and_b32 s8, s7, exec_lo
.LBB2_400:
	s_or_b32 exec_lo, exec_lo, s16
	v_and_b32_e32 v38, 0x80, v35
	v_dual_cndmask_b32 v28, v26, v28, s15 :: v_dual_cndmask_b32 v29, v27, v29, s15
	v_dual_cndmask_b32 v14, v14, v16, s12 :: v_dual_cndmask_b32 v11, v11, v13, s11
	s_delay_alu instid0(VALU_DEP_3) | instskip(SKIP_2) | instid1(VALU_DEP_3)
	v_dual_cndmask_b32 v23, v23, v25, s14 :: v_dual_min_i32 v26, v34, v38
	v_and_b32_e32 v16, 0x78, v35
	v_dual_cndmask_b32 v10, v10, v12, s11 :: v_dual_cndmask_b32 v9, v7, v9, s10
	v_add_min_i32_e64 v38, v26, 64, v34
	v_dual_cndmask_b32 v8, v6, v8, s10 :: v_dual_cndmask_b32 v5, v3, v5, s9
	s_wait_dscnt 0x0
	v_dual_cndmask_b32 v4, v2, v4, s9 :: v_dual_cndmask_b32 v13, v31, v33, s8
	s_delay_alu instid0(VALU_DEP_3) | instskip(SKIP_3) | instid1(VALU_DEP_4)
	v_add_min_i32_e64 v39, v38, 64, v34
	v_min_i32_e32 v7, v34, v16
	v_dual_cndmask_b32 v22, v22, v24, s14 :: v_dual_cndmask_b32 v19, v19, v21, s13
	v_dual_cndmask_b32 v18, v18, v20, s13 :: v_dual_cndmask_b32 v15, v15, v17, s12
	v_sub_nc_u32_e32 v16, v39, v38
	; wave barrier
	ds_store_2addr_b64 v37, v[4:5], v[8:9] offset1:1
	ds_store_2addr_b64 v37, v[10:11], v[14:15] offset0:2 offset1:3
	v_dual_sub_nc_u32 v3, v38, v26 :: v_dual_sub_nc_u32 v2, v7, v16
	v_cmp_ge_i32_e64 s7, v7, v16
	v_cndmask_b32_e64 v12, v30, v32, s8
	s_mov_b32 s8, exec_lo
	v_dual_cndmask_b32 v6, 0, v2, s7 :: v_dual_min_i32 v3, v7, v3
	v_lshl_add_u32 v2, v26, 3, v36
	ds_store_2addr_b64 v37, v[18:19], v[22:23] offset0:4 offset1:5
	ds_store_2addr_b64 v37, v[28:29], v[12:13] offset0:6 offset1:7
	; wave barrier
	v_cmpx_lt_i32_e64 v6, v3
	s_cbranch_execz .LBB2_408
; %bb.401:
	v_dual_lshlrev_b32 v4, 3, v38 :: v_dual_lshlrev_b32 v5, 3, v7
	s_mov_b32 s9, 0
                                        ; implicit-def: $sgpr10
	s_delay_alu instid0(VALU_DEP_1)
	v_add3_u32 v4, v36, v4, v5
	s_branch .LBB2_404
.LBB2_402:                              ;   in Loop: Header=BB2_404 Depth=1
	s_or_b32 exec_lo, exec_lo, s13
	s_delay_alu instid0(SALU_CYCLE_1) | instskip(SKIP_1) | instid1(SALU_CYCLE_1)
	s_and_not1_b32 s7, s10, exec_lo
	s_and_b32 s10, s12, exec_lo
	s_or_b32 s10, s7, s10
.LBB2_403:                              ;   in Loop: Header=BB2_404 Depth=1
	s_or_b32 exec_lo, exec_lo, s11
	v_dual_add_nc_u32 v8, 1, v5 :: v_dual_cndmask_b32 v3, v3, v5, s10
	s_delay_alu instid0(VALU_DEP_1) | instskip(NEXT) | instid1(VALU_DEP_1)
	v_cndmask_b32_e64 v6, v8, v6, s10
	v_cmp_ge_i32_e64 s7, v6, v3
	s_or_b32 s9, s7, s9
	s_delay_alu instid0(SALU_CYCLE_1)
	s_and_not1_b32 exec_lo, exec_lo, s9
	s_cbranch_execz .LBB2_407
.LBB2_404:                              ; =>This Inner Loop Header: Depth=1
	v_sub_nc_u32_e32 v5, v3, v6
	s_or_b32 s10, s10, exec_lo
	s_mov_b32 s11, exec_lo
	s_delay_alu instid0(VALU_DEP_1) | instskip(NEXT) | instid1(VALU_DEP_1)
	v_lshrrev_b32_e32 v5, 1, v5
	v_add_nc_u32_e32 v5, v5, v6
	s_delay_alu instid0(VALU_DEP_1) | instskip(SKIP_1) | instid1(VALU_DEP_2)
	v_not_b32_e32 v9, v5
	v_lshl_add_u32 v8, v5, 3, v2
	v_lshl_add_u32 v9, v9, 3, v4
	ds_load_b32 v10, v8
	ds_load_b32 v11, v9
	s_wait_dscnt 0x0
	v_cmpx_nlt_f32_e32 v11, v10
	s_cbranch_execz .LBB2_403
; %bb.405:                              ;   in Loop: Header=BB2_404 Depth=1
	s_mov_b32 s12, 0
	s_mov_b32 s13, exec_lo
	v_cmpx_eq_f32_e32 v11, v10
	s_cbranch_execz .LBB2_402
; %bb.406:                              ;   in Loop: Header=BB2_404 Depth=1
	ds_load_b32 v9, v9 offset:4
	ds_load_b32 v8, v8 offset:4
	s_wait_dscnt 0x0
	v_cmp_lt_f32_e64 s7, v9, v8
	s_and_b32 s12, s7, exec_lo
	s_branch .LBB2_402
.LBB2_407:
	s_or_b32 exec_lo, exec_lo, s9
.LBB2_408:
	s_delay_alu instid0(SALU_CYCLE_1) | instskip(SKIP_2) | instid1(VALU_DEP_2)
	s_or_b32 exec_lo, exec_lo, s8
	v_add_nc_u32_e32 v3, v38, v7
	v_lshl_add_u32 v8, v6, 3, v2
	v_sub_nc_u32_e32 v10, v3, v6
	s_delay_alu instid0(VALU_DEP_1) | instskip(SKIP_4) | instid1(SALU_CYCLE_1)
	v_lshl_add_u32 v11, v10, 3, v36
	v_cmp_le_i32_e64 s7, v39, v10
	ds_load_b64 v[2:3], v8
	ds_load_b64 v[4:5], v11
	s_and_saveexec_b32 s8, s7
	s_xor_b32 s7, exec_lo, s8
	s_delay_alu instid0(SALU_CYCLE_1)
	s_or_saveexec_b32 s10, s7
	v_add_nc_u32_e32 v12, v6, v26
	s_mov_b32 s9, 0
	s_xor_b32 exec_lo, exec_lo, s10
	s_cbranch_execz .LBB2_414
; %bb.409:
	s_delay_alu instid0(VALU_DEP_1)
	v_cmp_gt_i32_e64 s7, v38, v12
	s_wait_dscnt 0x0
	v_cmp_nlt_f32_e64 s8, v4, v2
	s_and_b32 s9, s7, s8
	s_mov_b32 s7, -1
	s_and_saveexec_b32 s8, s9
	s_cbranch_execz .LBB2_413
; %bb.410:
	s_mov_b32 s9, 0
	s_mov_b32 s11, exec_lo
	v_cmpx_eq_f32_e32 v4, v2
; %bb.411:
	v_cmp_lt_f32_e64 s7, v5, v3
	s_and_b32 s9, s7, exec_lo
; %bb.412:
	s_or_b32 exec_lo, exec_lo, s11
	s_delay_alu instid0(SALU_CYCLE_1)
	s_or_not1_b32 s7, s9, exec_lo
.LBB2_413:
	s_or_b32 exec_lo, exec_lo, s8
	s_delay_alu instid0(SALU_CYCLE_1)
	s_and_b32 s9, s7, exec_lo
.LBB2_414:
	s_or_b32 exec_lo, exec_lo, s10
	s_xor_b32 s7, s9, -1
                                        ; implicit-def: $vgpr6_vgpr7
	s_delay_alu instid0(SALU_CYCLE_1) | instskip(NEXT) | instid1(SALU_CYCLE_1)
	s_and_saveexec_b32 s8, s7
	s_xor_b32 s7, exec_lo, s8
; %bb.415:
	ds_load_b64 v[6:7], v8 offset:8
                                        ; implicit-def: $vgpr11
; %bb.416:
	s_or_saveexec_b32 s7, s7
	s_wait_dscnt 0x0
	v_mov_b64_e32 v[8:9], v[4:5]
	s_xor_b32 exec_lo, exec_lo, s7
; %bb.417:
	ds_load_b64 v[8:9], v11 offset:8
	v_mov_b64_e32 v[6:7], v[2:3]
; %bb.418:
	s_or_b32 exec_lo, exec_lo, s7
	v_dual_add_nc_u32 v11, 1, v10 :: v_dual_add_nc_u32 v13, 1, v12
	s_mov_b32 s10, 0
	s_mov_b32 s11, exec_lo
	s_delay_alu instid0(VALU_DEP_1) | instskip(NEXT) | instid1(VALU_DEP_1)
	v_dual_cndmask_b32 v15, v10, v11, s9 :: v_dual_cndmask_b32 v14, v13, v12, s9
	v_cmpx_lt_i32_e64 v15, v39
	s_cbranch_execz .LBB2_424
; %bb.419:
	s_delay_alu instid0(VALU_DEP_2)
	v_cmp_lt_i32_e64 s7, v14, v38
	s_wait_dscnt 0x0
	v_cmp_nlt_f32_e64 s8, v8, v6
	s_and_b32 s10, s7, s8
	s_mov_b32 s7, -1
	s_and_saveexec_b32 s8, s10
	s_cbranch_execz .LBB2_423
; %bb.420:
	s_mov_b32 s10, 0
	s_mov_b32 s12, exec_lo
	v_cmpx_eq_f32_e32 v8, v6
; %bb.421:
	v_cmp_lt_f32_e64 s7, v9, v7
	s_and_b32 s10, s7, exec_lo
; %bb.422:
	s_or_b32 exec_lo, exec_lo, s12
	s_delay_alu instid0(SALU_CYCLE_1)
	s_or_not1_b32 s7, s10, exec_lo
.LBB2_423:
	s_or_b32 exec_lo, exec_lo, s8
	s_delay_alu instid0(SALU_CYCLE_1)
	s_and_b32 s10, s7, exec_lo
.LBB2_424:
	s_or_b32 exec_lo, exec_lo, s11
	s_xor_b32 s7, s10, -1
                                        ; implicit-def: $vgpr10_vgpr11
	s_delay_alu instid0(SALU_CYCLE_1) | instskip(NEXT) | instid1(SALU_CYCLE_1)
	s_and_saveexec_b32 s8, s7
	s_xor_b32 s7, exec_lo, s8
; %bb.425:
	v_lshl_add_u32 v10, v14, 3, v36
	ds_load_b64 v[10:11], v10 offset:8
; %bb.426:
	s_or_saveexec_b32 s7, s7
	s_wait_dscnt 0x0
	v_mov_b64_e32 v[12:13], v[8:9]
	s_xor_b32 exec_lo, exec_lo, s7
; %bb.427:
	v_lshl_add_u32 v10, v15, 3, v36
	ds_load_b64 v[12:13], v10 offset:8
	v_mov_b64_e32 v[10:11], v[6:7]
; %bb.428:
	s_or_b32 exec_lo, exec_lo, s7
	v_add_nc_u32_e32 v16, 1, v15
	s_delay_alu instid0(VALU_DEP_1) | instskip(NEXT) | instid1(VALU_DEP_1)
	v_dual_cndmask_b32 v18, v15, v16, s10 :: v_dual_add_nc_u32 v15, 1, v14
	v_cmp_ge_i32_e64 s7, v18, v39
	s_and_saveexec_b32 s8, s7
	s_delay_alu instid0(SALU_CYCLE_1) | instskip(NEXT) | instid1(SALU_CYCLE_1)
	s_xor_b32 s7, exec_lo, s8
	s_or_saveexec_b32 s12, s7
	v_cndmask_b32_e64 v19, v15, v14, s10
	s_mov_b32 s11, 0
	s_xor_b32 exec_lo, exec_lo, s12
	s_cbranch_execz .LBB2_434
; %bb.429:
	s_delay_alu instid0(VALU_DEP_1)
	v_cmp_lt_i32_e64 s7, v19, v38
	s_wait_dscnt 0x0
	v_cmp_nlt_f32_e64 s8, v12, v10
	s_and_b32 s11, s7, s8
	s_mov_b32 s7, -1
	s_and_saveexec_b32 s8, s11
	s_cbranch_execz .LBB2_433
; %bb.430:
	s_mov_b32 s11, 0
	s_mov_b32 s13, exec_lo
	v_cmpx_eq_f32_e32 v12, v10
; %bb.431:
	v_cmp_lt_f32_e64 s7, v13, v11
	s_and_b32 s11, s7, exec_lo
; %bb.432:
	s_or_b32 exec_lo, exec_lo, s13
	s_delay_alu instid0(SALU_CYCLE_1)
	s_or_not1_b32 s7, s11, exec_lo
.LBB2_433:
	s_or_b32 exec_lo, exec_lo, s8
	s_delay_alu instid0(SALU_CYCLE_1)
	s_and_b32 s11, s7, exec_lo
.LBB2_434:
	s_or_b32 exec_lo, exec_lo, s12
	s_xor_b32 s7, s11, -1
                                        ; implicit-def: $vgpr14_vgpr15
	s_delay_alu instid0(SALU_CYCLE_1) | instskip(NEXT) | instid1(SALU_CYCLE_1)
	s_and_saveexec_b32 s8, s7
	s_xor_b32 s7, exec_lo, s8
; %bb.435:
	v_lshl_add_u32 v14, v19, 3, v36
	ds_load_b64 v[14:15], v14 offset:8
; %bb.436:
	s_or_saveexec_b32 s7, s7
	s_wait_dscnt 0x0
	v_mov_b64_e32 v[16:17], v[12:13]
	s_xor_b32 exec_lo, exec_lo, s7
; %bb.437:
	v_lshl_add_u32 v14, v18, 3, v36
	ds_load_b64 v[16:17], v14 offset:8
	v_mov_b64_e32 v[14:15], v[10:11]
; %bb.438:
	s_or_b32 exec_lo, exec_lo, s7
	v_dual_add_nc_u32 v20, 1, v18 :: v_dual_add_nc_u32 v21, 1, v19
	s_mov_b32 s12, 0
	s_mov_b32 s13, exec_lo
	s_delay_alu instid0(VALU_DEP_1) | instskip(NEXT) | instid1(VALU_DEP_1)
	v_dual_cndmask_b32 v23, v18, v20, s11 :: v_dual_cndmask_b32 v22, v21, v19, s11
	v_cmpx_lt_i32_e64 v23, v39
	s_cbranch_execz .LBB2_444
; %bb.439:
	s_delay_alu instid0(VALU_DEP_2)
	v_cmp_lt_i32_e64 s7, v22, v38
	s_wait_dscnt 0x0
	v_cmp_nlt_f32_e64 s8, v16, v14
	s_and_b32 s12, s7, s8
	s_mov_b32 s7, -1
	s_and_saveexec_b32 s8, s12
	s_cbranch_execz .LBB2_443
; %bb.440:
	s_mov_b32 s12, 0
	s_mov_b32 s14, exec_lo
	v_cmpx_eq_f32_e32 v16, v14
; %bb.441:
	v_cmp_lt_f32_e64 s7, v17, v15
	s_and_b32 s12, s7, exec_lo
; %bb.442:
	s_or_b32 exec_lo, exec_lo, s14
	s_delay_alu instid0(SALU_CYCLE_1)
	s_or_not1_b32 s7, s12, exec_lo
.LBB2_443:
	s_or_b32 exec_lo, exec_lo, s8
	s_delay_alu instid0(SALU_CYCLE_1)
	s_and_b32 s12, s7, exec_lo
.LBB2_444:
	s_or_b32 exec_lo, exec_lo, s13
	s_xor_b32 s7, s12, -1
                                        ; implicit-def: $vgpr18_vgpr19
	s_delay_alu instid0(SALU_CYCLE_1) | instskip(NEXT) | instid1(SALU_CYCLE_1)
	s_and_saveexec_b32 s8, s7
	s_xor_b32 s7, exec_lo, s8
; %bb.445:
	v_lshl_add_u32 v18, v22, 3, v36
	ds_load_b64 v[18:19], v18 offset:8
; %bb.446:
	s_or_saveexec_b32 s7, s7
	s_wait_dscnt 0x0
	v_mov_b64_e32 v[20:21], v[16:17]
	s_xor_b32 exec_lo, exec_lo, s7
; %bb.447:
	v_lshl_add_u32 v18, v23, 3, v36
	ds_load_b64 v[20:21], v18 offset:8
	v_mov_b64_e32 v[18:19], v[14:15]
; %bb.448:
	s_or_b32 exec_lo, exec_lo, s7
	v_add_nc_u32_e32 v24, 1, v23
	s_delay_alu instid0(VALU_DEP_1) | instskip(NEXT) | instid1(VALU_DEP_1)
	v_dual_cndmask_b32 v26, v23, v24, s12 :: v_dual_add_nc_u32 v23, 1, v22
	v_cmp_ge_i32_e64 s7, v26, v39
	s_and_saveexec_b32 s8, s7
	s_delay_alu instid0(SALU_CYCLE_1) | instskip(NEXT) | instid1(SALU_CYCLE_1)
	s_xor_b32 s7, exec_lo, s8
	s_or_saveexec_b32 s14, s7
	v_cndmask_b32_e64 v27, v23, v22, s12
	s_mov_b32 s13, 0
	s_xor_b32 exec_lo, exec_lo, s14
	s_cbranch_execz .LBB2_454
; %bb.449:
	s_delay_alu instid0(VALU_DEP_1)
	v_cmp_lt_i32_e64 s7, v27, v38
	s_wait_dscnt 0x0
	v_cmp_nlt_f32_e64 s8, v20, v18
	s_and_b32 s13, s7, s8
	s_mov_b32 s7, -1
	s_and_saveexec_b32 s8, s13
	s_cbranch_execz .LBB2_453
; %bb.450:
	s_mov_b32 s13, 0
	s_mov_b32 s15, exec_lo
	v_cmpx_eq_f32_e32 v20, v18
; %bb.451:
	v_cmp_lt_f32_e64 s7, v21, v19
	s_and_b32 s13, s7, exec_lo
; %bb.452:
	s_or_b32 exec_lo, exec_lo, s15
	s_delay_alu instid0(SALU_CYCLE_1)
	s_or_not1_b32 s7, s13, exec_lo
.LBB2_453:
	s_or_b32 exec_lo, exec_lo, s8
	s_delay_alu instid0(SALU_CYCLE_1)
	s_and_b32 s13, s7, exec_lo
.LBB2_454:
	s_or_b32 exec_lo, exec_lo, s14
	s_xor_b32 s7, s13, -1
                                        ; implicit-def: $vgpr22_vgpr23
	s_delay_alu instid0(SALU_CYCLE_1) | instskip(NEXT) | instid1(SALU_CYCLE_1)
	s_and_saveexec_b32 s8, s7
	s_xor_b32 s7, exec_lo, s8
; %bb.455:
	v_lshl_add_u32 v22, v27, 3, v36
	ds_load_b64 v[22:23], v22 offset:8
; %bb.456:
	s_or_saveexec_b32 s7, s7
	s_wait_dscnt 0x0
	v_mov_b64_e32 v[24:25], v[20:21]
	s_xor_b32 exec_lo, exec_lo, s7
; %bb.457:
	v_lshl_add_u32 v22, v26, 3, v36
	ds_load_b64 v[24:25], v22 offset:8
	v_mov_b64_e32 v[22:23], v[18:19]
; %bb.458:
	s_or_b32 exec_lo, exec_lo, s7
	v_dual_add_nc_u32 v28, 1, v26 :: v_dual_add_nc_u32 v29, 1, v27
	s_mov_b32 s14, 0
	s_mov_b32 s15, exec_lo
	s_delay_alu instid0(VALU_DEP_1) | instskip(NEXT) | instid1(VALU_DEP_1)
	v_dual_cndmask_b32 v31, v26, v28, s13 :: v_dual_cndmask_b32 v30, v29, v27, s13
	v_cmpx_lt_i32_e64 v31, v39
	s_cbranch_execz .LBB2_464
; %bb.459:
	s_delay_alu instid0(VALU_DEP_2)
	v_cmp_lt_i32_e64 s7, v30, v38
	s_wait_dscnt 0x0
	v_cmp_nlt_f32_e64 s8, v24, v22
	s_and_b32 s14, s7, s8
	s_mov_b32 s7, -1
	s_and_saveexec_b32 s8, s14
	s_cbranch_execz .LBB2_463
; %bb.460:
	s_mov_b32 s14, 0
	s_mov_b32 s16, exec_lo
	v_cmpx_eq_f32_e32 v24, v22
; %bb.461:
	v_cmp_lt_f32_e64 s7, v25, v23
	s_and_b32 s14, s7, exec_lo
; %bb.462:
	s_or_b32 exec_lo, exec_lo, s16
	s_delay_alu instid0(SALU_CYCLE_1)
	s_or_not1_b32 s7, s14, exec_lo
.LBB2_463:
	s_or_b32 exec_lo, exec_lo, s8
	s_delay_alu instid0(SALU_CYCLE_1)
	s_and_b32 s14, s7, exec_lo
.LBB2_464:
	s_or_b32 exec_lo, exec_lo, s15
	s_xor_b32 s7, s14, -1
                                        ; implicit-def: $vgpr26_vgpr27
	s_delay_alu instid0(SALU_CYCLE_1) | instskip(NEXT) | instid1(SALU_CYCLE_1)
	s_and_saveexec_b32 s8, s7
	s_xor_b32 s7, exec_lo, s8
; %bb.465:
	v_lshl_add_u32 v26, v30, 3, v36
	ds_load_b64 v[26:27], v26 offset:8
; %bb.466:
	s_or_saveexec_b32 s7, s7
	s_wait_dscnt 0x0
	v_mov_b64_e32 v[28:29], v[24:25]
	s_xor_b32 exec_lo, exec_lo, s7
; %bb.467:
	v_lshl_add_u32 v26, v31, 3, v36
	ds_load_b64 v[28:29], v26 offset:8
	v_mov_b64_e32 v[26:27], v[22:23]
; %bb.468:
	s_or_b32 exec_lo, exec_lo, s7
	v_add_nc_u32_e32 v32, 1, v31
	s_delay_alu instid0(VALU_DEP_1) | instskip(NEXT) | instid1(VALU_DEP_1)
	v_dual_cndmask_b32 v40, v31, v32, s14 :: v_dual_add_nc_u32 v31, 1, v30
	v_cmp_ge_i32_e64 s7, v40, v39
	s_and_saveexec_b32 s8, s7
	s_delay_alu instid0(SALU_CYCLE_1) | instskip(NEXT) | instid1(SALU_CYCLE_1)
	s_xor_b32 s7, exec_lo, s8
	s_or_saveexec_b32 s16, s7
	v_cndmask_b32_e64 v41, v31, v30, s14
	s_mov_b32 s15, 0
	s_xor_b32 exec_lo, exec_lo, s16
	s_cbranch_execz .LBB2_474
; %bb.469:
	s_delay_alu instid0(VALU_DEP_1)
	v_cmp_lt_i32_e64 s7, v41, v38
	s_wait_dscnt 0x0
	v_cmp_nlt_f32_e64 s8, v28, v26
	s_and_b32 s15, s7, s8
	s_mov_b32 s7, -1
	s_and_saveexec_b32 s8, s15
	s_cbranch_execz .LBB2_473
; %bb.470:
	s_mov_b32 s15, 0
	s_mov_b32 s17, exec_lo
	v_cmpx_eq_f32_e32 v28, v26
; %bb.471:
	v_cmp_lt_f32_e64 s7, v29, v27
	s_and_b32 s15, s7, exec_lo
; %bb.472:
	s_or_b32 exec_lo, exec_lo, s17
	s_delay_alu instid0(SALU_CYCLE_1)
	s_or_not1_b32 s7, s15, exec_lo
.LBB2_473:
	s_or_b32 exec_lo, exec_lo, s8
	s_delay_alu instid0(SALU_CYCLE_1)
	s_and_b32 s15, s7, exec_lo
.LBB2_474:
	s_or_b32 exec_lo, exec_lo, s16
	s_xor_b32 s7, s15, -1
                                        ; implicit-def: $vgpr30_vgpr31
	s_delay_alu instid0(SALU_CYCLE_1) | instskip(NEXT) | instid1(SALU_CYCLE_1)
	s_and_saveexec_b32 s8, s7
	s_xor_b32 s7, exec_lo, s8
; %bb.475:
	v_lshl_add_u32 v30, v41, 3, v36
	ds_load_b64 v[30:31], v30 offset:8
; %bb.476:
	s_or_saveexec_b32 s7, s7
	s_wait_dscnt 0x0
	v_mov_b64_e32 v[32:33], v[28:29]
	s_xor_b32 exec_lo, exec_lo, s7
; %bb.477:
	v_lshl_add_u32 v30, v40, 3, v36
	ds_load_b64 v[32:33], v30 offset:8
	v_mov_b64_e32 v[30:31], v[26:27]
; %bb.478:
	s_or_b32 exec_lo, exec_lo, s7
	v_add_nc_u32_e32 v42, 1, v40
	s_mov_b32 s8, 0
	s_mov_b32 s16, exec_lo
	s_delay_alu instid0(VALU_DEP_1) | instskip(NEXT) | instid1(VALU_DEP_1)
	v_cndmask_b32_e64 v40, v40, v42, s15
	v_cmpx_lt_i32_e64 v40, v39
	s_cbranch_execz .LBB2_484
; %bb.479:
	v_add_nc_u32_e32 v39, 1, v41
	s_wait_dscnt 0x0
	v_cmp_nlt_f32_e64 s7, v32, v30
	s_delay_alu instid0(VALU_DEP_2) | instskip(NEXT) | instid1(VALU_DEP_1)
	v_cndmask_b32_e64 v39, v39, v41, s15
	v_cmp_lt_i32_e64 s8, v39, v38
	s_and_b32 s17, s8, s7
	s_mov_b32 s7, -1
	s_and_saveexec_b32 s8, s17
	s_cbranch_execz .LBB2_483
; %bb.480:
	s_mov_b32 s17, 0
	s_mov_b32 s18, exec_lo
	v_cmpx_eq_f32_e32 v32, v30
; %bb.481:
	v_cmp_lt_f32_e64 s7, v33, v31
	s_and_b32 s17, s7, exec_lo
; %bb.482:
	s_or_b32 exec_lo, exec_lo, s18
	s_delay_alu instid0(SALU_CYCLE_1)
	s_or_not1_b32 s7, s17, exec_lo
.LBB2_483:
	s_or_b32 exec_lo, exec_lo, s8
	s_delay_alu instid0(SALU_CYCLE_1)
	s_and_b32 s8, s7, exec_lo
.LBB2_484:
	s_or_b32 exec_lo, exec_lo, s16
	v_dual_cndmask_b32 v26, v26, v28, s15 :: v_dual_min_i32 v40, 0, v34
	v_dual_cndmask_b32 v19, v19, v21, s13 :: v_dual_cndmask_b32 v14, v14, v16, s12
	v_cndmask_b32_e64 v11, v11, v13, s11
	s_delay_alu instid0(VALU_DEP_3) | instskip(SKIP_2) | instid1(VALU_DEP_3)
	v_add_min_i32_e64 v38, 0x80, v40, v34
	v_dual_cndmask_b32 v9, v7, v9, s10 :: v_dual_cndmask_b32 v8, v6, v8, s10
	v_dual_cndmask_b32 v5, v3, v5, s9 :: v_dual_min_i32 v7, v34, v35
	v_sub_nc_u32_e32 v3, v38, v40
	v_add_min_i32_e64 v39, 0x80, v38, v34
	v_dual_cndmask_b32 v27, v27, v29, s15 :: v_dual_cndmask_b32 v22, v22, v24, s14
	v_dual_cndmask_b32 v23, v23, v25, s14 :: v_dual_cndmask_b32 v18, v18, v20, s13
	s_delay_alu instid0(VALU_DEP_3) | instskip(SKIP_1) | instid1(VALU_DEP_2)
	v_dual_sub_nc_u32 v16, v39, v38 :: v_dual_cndmask_b32 v4, v2, v4, s9
	v_dual_cndmask_b32 v15, v15, v17, s12 :: v_dual_cndmask_b32 v10, v10, v12, s11
	v_dual_sub_nc_u32 v2, v7, v16 :: v_dual_min_i32 v3, v7, v3
	v_cmp_ge_i32_e64 s7, v7, v16
	s_wait_dscnt 0x0
	v_dual_cndmask_b32 v13, v31, v33, s8 :: v_dual_cndmask_b32 v12, v30, v32, s8
	s_mov_b32 s8, exec_lo
	v_cndmask_b32_e64 v6, 0, v2, s7
	v_lshl_add_u32 v2, v40, 3, v36
	; wave barrier
	ds_store_2addr_b64 v37, v[4:5], v[8:9] offset1:1
	ds_store_2addr_b64 v37, v[10:11], v[14:15] offset0:2 offset1:3
	ds_store_2addr_b64 v37, v[18:19], v[22:23] offset0:4 offset1:5
	;; [unrolled: 1-line block ×3, first 2 shown]
	; wave barrier
	v_cmpx_lt_i32_e64 v6, v3
	s_cbranch_execz .LBB2_492
; %bb.485:
	v_dual_lshlrev_b32 v4, 3, v38 :: v_dual_lshlrev_b32 v5, 3, v7
	s_mov_b32 s9, 0
                                        ; implicit-def: $sgpr10
	s_delay_alu instid0(VALU_DEP_1)
	v_add3_u32 v4, v36, v4, v5
	s_branch .LBB2_488
.LBB2_486:                              ;   in Loop: Header=BB2_488 Depth=1
	s_or_b32 exec_lo, exec_lo, s13
	s_delay_alu instid0(SALU_CYCLE_1) | instskip(SKIP_1) | instid1(SALU_CYCLE_1)
	s_and_not1_b32 s7, s10, exec_lo
	s_and_b32 s10, s12, exec_lo
	s_or_b32 s10, s7, s10
.LBB2_487:                              ;   in Loop: Header=BB2_488 Depth=1
	s_or_b32 exec_lo, exec_lo, s11
	v_dual_add_nc_u32 v8, 1, v5 :: v_dual_cndmask_b32 v3, v3, v5, s10
	s_delay_alu instid0(VALU_DEP_1) | instskip(NEXT) | instid1(VALU_DEP_1)
	v_cndmask_b32_e64 v6, v8, v6, s10
	v_cmp_ge_i32_e64 s7, v6, v3
	s_or_b32 s9, s7, s9
	s_delay_alu instid0(SALU_CYCLE_1)
	s_and_not1_b32 exec_lo, exec_lo, s9
	s_cbranch_execz .LBB2_491
.LBB2_488:                              ; =>This Inner Loop Header: Depth=1
	v_sub_nc_u32_e32 v5, v3, v6
	s_or_b32 s10, s10, exec_lo
	s_mov_b32 s11, exec_lo
	s_delay_alu instid0(VALU_DEP_1) | instskip(NEXT) | instid1(VALU_DEP_1)
	v_lshrrev_b32_e32 v5, 1, v5
	v_add_nc_u32_e32 v5, v5, v6
	s_delay_alu instid0(VALU_DEP_1) | instskip(SKIP_1) | instid1(VALU_DEP_2)
	v_not_b32_e32 v9, v5
	v_lshl_add_u32 v8, v5, 3, v2
	v_lshl_add_u32 v9, v9, 3, v4
	ds_load_b32 v10, v8
	ds_load_b32 v11, v9
	s_wait_dscnt 0x0
	v_cmpx_nlt_f32_e32 v11, v10
	s_cbranch_execz .LBB2_487
; %bb.489:                              ;   in Loop: Header=BB2_488 Depth=1
	s_mov_b32 s12, 0
	s_mov_b32 s13, exec_lo
	v_cmpx_eq_f32_e32 v11, v10
	s_cbranch_execz .LBB2_486
; %bb.490:                              ;   in Loop: Header=BB2_488 Depth=1
	ds_load_b32 v9, v9 offset:4
	ds_load_b32 v8, v8 offset:4
	s_wait_dscnt 0x0
	v_cmp_lt_f32_e64 s7, v9, v8
	s_and_b32 s12, s7, exec_lo
	s_branch .LBB2_486
.LBB2_491:
	s_or_b32 exec_lo, exec_lo, s9
.LBB2_492:
	s_delay_alu instid0(SALU_CYCLE_1) | instskip(SKIP_2) | instid1(VALU_DEP_2)
	s_or_b32 exec_lo, exec_lo, s8
	v_add_nc_u32_e32 v3, v7, v38
	v_lshl_add_u32 v8, v6, 3, v2
	v_sub_nc_u32_e32 v10, v3, v6
	s_delay_alu instid0(VALU_DEP_1) | instskip(SKIP_4) | instid1(SALU_CYCLE_1)
	v_lshl_add_u32 v12, v10, 3, v36
	v_cmp_le_i32_e64 s7, v39, v10
	ds_load_b64 v[2:3], v8
	ds_load_b64 v[4:5], v12
	s_and_saveexec_b32 s8, s7
	s_xor_b32 s7, exec_lo, s8
	s_delay_alu instid0(SALU_CYCLE_1)
	s_or_saveexec_b32 s10, s7
	v_add_nc_u32_e32 v11, v6, v40
	s_mov_b32 s9, 0
	s_xor_b32 exec_lo, exec_lo, s10
	s_cbranch_execz .LBB2_498
; %bb.493:
	s_delay_alu instid0(VALU_DEP_1)
	v_cmp_gt_i32_e64 s7, v38, v11
	s_wait_dscnt 0x0
	v_cmp_nlt_f32_e64 s8, v4, v2
	s_and_b32 s9, s7, s8
	s_mov_b32 s7, -1
	s_and_saveexec_b32 s8, s9
	s_cbranch_execz .LBB2_497
; %bb.494:
	s_mov_b32 s9, 0
	s_mov_b32 s11, exec_lo
	v_cmpx_eq_f32_e32 v4, v2
; %bb.495:
	v_cmp_lt_f32_e64 s7, v5, v3
	s_and_b32 s9, s7, exec_lo
; %bb.496:
	s_or_b32 exec_lo, exec_lo, s11
	s_delay_alu instid0(SALU_CYCLE_1)
	s_or_not1_b32 s7, s9, exec_lo
.LBB2_497:
	s_or_b32 exec_lo, exec_lo, s8
	s_delay_alu instid0(SALU_CYCLE_1)
	s_and_b32 s9, s7, exec_lo
.LBB2_498:
	s_or_b32 exec_lo, exec_lo, s10
	s_xor_b32 s7, s9, -1
                                        ; implicit-def: $vgpr6_vgpr7
	s_delay_alu instid0(SALU_CYCLE_1) | instskip(NEXT) | instid1(SALU_CYCLE_1)
	s_and_saveexec_b32 s8, s7
	s_xor_b32 s7, exec_lo, s8
; %bb.499:
	ds_load_b64 v[6:7], v8 offset:8
                                        ; implicit-def: $vgpr12
; %bb.500:
	s_or_saveexec_b32 s7, s7
	s_wait_dscnt 0x0
	v_mov_b64_e32 v[8:9], v[4:5]
	s_xor_b32 exec_lo, exec_lo, s7
; %bb.501:
	ds_load_b64 v[8:9], v12 offset:8
	v_mov_b64_e32 v[6:7], v[2:3]
; %bb.502:
	s_or_b32 exec_lo, exec_lo, s7
	v_add_nc_u32_e32 v12, 1, v10
	s_delay_alu instid0(VALU_DEP_1) | instskip(NEXT) | instid1(VALU_DEP_1)
	v_dual_cndmask_b32 v14, v10, v12, s9 :: v_dual_add_nc_u32 v10, 1, v11
	v_cmp_ge_i32_e64 s7, v14, v39
	s_and_saveexec_b32 s8, s7
	s_delay_alu instid0(SALU_CYCLE_1) | instskip(NEXT) | instid1(SALU_CYCLE_1)
	s_xor_b32 s7, exec_lo, s8
	s_or_saveexec_b32 s11, s7
	v_cndmask_b32_e64 v15, v10, v11, s9
	s_mov_b32 s10, 0
	s_xor_b32 exec_lo, exec_lo, s11
	s_cbranch_execz .LBB2_508
; %bb.503:
	s_delay_alu instid0(VALU_DEP_1)
	v_cmp_lt_i32_e64 s7, v15, v38
	s_wait_dscnt 0x0
	v_cmp_nlt_f32_e64 s8, v8, v6
	s_and_b32 s10, s7, s8
	s_mov_b32 s7, -1
	s_and_saveexec_b32 s8, s10
	s_cbranch_execz .LBB2_507
; %bb.504:
	s_mov_b32 s10, 0
	s_mov_b32 s12, exec_lo
	v_cmpx_eq_f32_e32 v8, v6
; %bb.505:
	v_cmp_lt_f32_e64 s7, v9, v7
	s_and_b32 s10, s7, exec_lo
; %bb.506:
	s_or_b32 exec_lo, exec_lo, s12
	s_delay_alu instid0(SALU_CYCLE_1)
	s_or_not1_b32 s7, s10, exec_lo
.LBB2_507:
	s_or_b32 exec_lo, exec_lo, s8
	s_delay_alu instid0(SALU_CYCLE_1)
	s_and_b32 s10, s7, exec_lo
.LBB2_508:
	s_or_b32 exec_lo, exec_lo, s11
	s_xor_b32 s7, s10, -1
                                        ; implicit-def: $vgpr10_vgpr11
	s_delay_alu instid0(SALU_CYCLE_1) | instskip(NEXT) | instid1(SALU_CYCLE_1)
	s_and_saveexec_b32 s8, s7
	s_xor_b32 s7, exec_lo, s8
; %bb.509:
	v_lshl_add_u32 v10, v15, 3, v36
	ds_load_b64 v[10:11], v10 offset:8
; %bb.510:
	s_or_saveexec_b32 s7, s7
	s_wait_dscnt 0x0
	v_mov_b64_e32 v[12:13], v[8:9]
	s_xor_b32 exec_lo, exec_lo, s7
; %bb.511:
	v_lshl_add_u32 v10, v14, 3, v36
	ds_load_b64 v[12:13], v10 offset:8
	v_mov_b64_e32 v[10:11], v[6:7]
; %bb.512:
	s_or_b32 exec_lo, exec_lo, s7
	v_add_nc_u32_e32 v16, 1, v14
	s_delay_alu instid0(VALU_DEP_1) | instskip(NEXT) | instid1(VALU_DEP_1)
	v_dual_cndmask_b32 v18, v14, v16, s10 :: v_dual_add_nc_u32 v14, 1, v15
	v_cmp_ge_i32_e64 s7, v18, v39
	s_and_saveexec_b32 s8, s7
	s_delay_alu instid0(SALU_CYCLE_1) | instskip(NEXT) | instid1(SALU_CYCLE_1)
	s_xor_b32 s7, exec_lo, s8
	s_or_saveexec_b32 s12, s7
	v_cndmask_b32_e64 v19, v14, v15, s10
	s_mov_b32 s11, 0
	s_xor_b32 exec_lo, exec_lo, s12
	s_cbranch_execz .LBB2_518
; %bb.513:
	s_delay_alu instid0(VALU_DEP_1)
	v_cmp_lt_i32_e64 s7, v19, v38
	s_wait_dscnt 0x0
	v_cmp_nlt_f32_e64 s8, v12, v10
	s_and_b32 s11, s7, s8
	s_mov_b32 s7, -1
	s_and_saveexec_b32 s8, s11
	s_cbranch_execz .LBB2_517
; %bb.514:
	s_mov_b32 s11, 0
	s_mov_b32 s13, exec_lo
	v_cmpx_eq_f32_e32 v12, v10
; %bb.515:
	v_cmp_lt_f32_e64 s7, v13, v11
	s_and_b32 s11, s7, exec_lo
; %bb.516:
	s_or_b32 exec_lo, exec_lo, s13
	s_delay_alu instid0(SALU_CYCLE_1)
	s_or_not1_b32 s7, s11, exec_lo
.LBB2_517:
	s_or_b32 exec_lo, exec_lo, s8
	s_delay_alu instid0(SALU_CYCLE_1)
	s_and_b32 s11, s7, exec_lo
.LBB2_518:
	s_or_b32 exec_lo, exec_lo, s12
	s_xor_b32 s7, s11, -1
                                        ; implicit-def: $vgpr14_vgpr15
	s_delay_alu instid0(SALU_CYCLE_1) | instskip(NEXT) | instid1(SALU_CYCLE_1)
	s_and_saveexec_b32 s8, s7
	s_xor_b32 s7, exec_lo, s8
; %bb.519:
	v_lshl_add_u32 v14, v19, 3, v36
	ds_load_b64 v[14:15], v14 offset:8
; %bb.520:
	s_or_saveexec_b32 s7, s7
	s_wait_dscnt 0x0
	v_mov_b64_e32 v[16:17], v[12:13]
	s_xor_b32 exec_lo, exec_lo, s7
; %bb.521:
	v_lshl_add_u32 v14, v18, 3, v36
	ds_load_b64 v[16:17], v14 offset:8
	v_mov_b64_e32 v[14:15], v[10:11]
; %bb.522:
	s_or_b32 exec_lo, exec_lo, s7
	v_add_nc_u32_e32 v20, 1, v18
	s_delay_alu instid0(VALU_DEP_1) | instskip(NEXT) | instid1(VALU_DEP_1)
	v_dual_cndmask_b32 v22, v18, v20, s11 :: v_dual_add_nc_u32 v18, 1, v19
	v_cmp_ge_i32_e64 s7, v22, v39
	s_and_saveexec_b32 s8, s7
	s_delay_alu instid0(SALU_CYCLE_1) | instskip(NEXT) | instid1(SALU_CYCLE_1)
	s_xor_b32 s7, exec_lo, s8
	s_or_saveexec_b32 s13, s7
	v_cndmask_b32_e64 v23, v18, v19, s11
	s_mov_b32 s12, 0
	s_xor_b32 exec_lo, exec_lo, s13
	s_cbranch_execz .LBB2_528
; %bb.523:
	s_delay_alu instid0(VALU_DEP_1)
	v_cmp_lt_i32_e64 s7, v23, v38
	s_wait_dscnt 0x0
	v_cmp_nlt_f32_e64 s8, v16, v14
	s_and_b32 s12, s7, s8
	s_mov_b32 s7, -1
	s_and_saveexec_b32 s8, s12
	s_cbranch_execz .LBB2_527
; %bb.524:
	s_mov_b32 s12, 0
	s_mov_b32 s14, exec_lo
	v_cmpx_eq_f32_e32 v16, v14
; %bb.525:
	v_cmp_lt_f32_e64 s7, v17, v15
	s_and_b32 s12, s7, exec_lo
; %bb.526:
	s_or_b32 exec_lo, exec_lo, s14
	s_delay_alu instid0(SALU_CYCLE_1)
	s_or_not1_b32 s7, s12, exec_lo
.LBB2_527:
	s_or_b32 exec_lo, exec_lo, s8
	s_delay_alu instid0(SALU_CYCLE_1)
	s_and_b32 s12, s7, exec_lo
.LBB2_528:
	s_or_b32 exec_lo, exec_lo, s13
	s_xor_b32 s7, s12, -1
                                        ; implicit-def: $vgpr18_vgpr19
	s_delay_alu instid0(SALU_CYCLE_1) | instskip(NEXT) | instid1(SALU_CYCLE_1)
	s_and_saveexec_b32 s8, s7
	s_xor_b32 s7, exec_lo, s8
; %bb.529:
	v_lshl_add_u32 v18, v23, 3, v36
	ds_load_b64 v[18:19], v18 offset:8
; %bb.530:
	s_or_saveexec_b32 s7, s7
	s_wait_dscnt 0x0
	v_mov_b64_e32 v[20:21], v[16:17]
	s_xor_b32 exec_lo, exec_lo, s7
; %bb.531:
	v_lshl_add_u32 v18, v22, 3, v36
	ds_load_b64 v[20:21], v18 offset:8
	v_mov_b64_e32 v[18:19], v[14:15]
; %bb.532:
	s_or_b32 exec_lo, exec_lo, s7
	v_add_nc_u32_e32 v24, 1, v22
	s_delay_alu instid0(VALU_DEP_1) | instskip(NEXT) | instid1(VALU_DEP_1)
	v_dual_cndmask_b32 v26, v22, v24, s12 :: v_dual_add_nc_u32 v22, 1, v23
	v_cmp_ge_i32_e64 s7, v26, v39
	s_and_saveexec_b32 s8, s7
	s_delay_alu instid0(SALU_CYCLE_1) | instskip(NEXT) | instid1(SALU_CYCLE_1)
	s_xor_b32 s7, exec_lo, s8
	s_or_saveexec_b32 s14, s7
	v_cndmask_b32_e64 v27, v22, v23, s12
	s_mov_b32 s13, 0
	s_xor_b32 exec_lo, exec_lo, s14
	s_cbranch_execz .LBB2_538
; %bb.533:
	s_delay_alu instid0(VALU_DEP_1)
	v_cmp_lt_i32_e64 s7, v27, v38
	s_wait_dscnt 0x0
	v_cmp_nlt_f32_e64 s8, v20, v18
	s_and_b32 s13, s7, s8
	s_mov_b32 s7, -1
	s_and_saveexec_b32 s8, s13
	s_cbranch_execz .LBB2_537
; %bb.534:
	s_mov_b32 s13, 0
	s_mov_b32 s15, exec_lo
	v_cmpx_eq_f32_e32 v20, v18
; %bb.535:
	v_cmp_lt_f32_e64 s7, v21, v19
	s_and_b32 s13, s7, exec_lo
; %bb.536:
	s_or_b32 exec_lo, exec_lo, s15
	s_delay_alu instid0(SALU_CYCLE_1)
	s_or_not1_b32 s7, s13, exec_lo
.LBB2_537:
	s_or_b32 exec_lo, exec_lo, s8
	s_delay_alu instid0(SALU_CYCLE_1)
	s_and_b32 s13, s7, exec_lo
.LBB2_538:
	s_or_b32 exec_lo, exec_lo, s14
	s_xor_b32 s7, s13, -1
                                        ; implicit-def: $vgpr22_vgpr23
	s_delay_alu instid0(SALU_CYCLE_1) | instskip(NEXT) | instid1(SALU_CYCLE_1)
	s_and_saveexec_b32 s8, s7
	s_xor_b32 s7, exec_lo, s8
; %bb.539:
	v_lshl_add_u32 v22, v27, 3, v36
	ds_load_b64 v[22:23], v22 offset:8
; %bb.540:
	s_or_saveexec_b32 s7, s7
	s_wait_dscnt 0x0
	v_mov_b64_e32 v[24:25], v[20:21]
	s_xor_b32 exec_lo, exec_lo, s7
; %bb.541:
	v_lshl_add_u32 v22, v26, 3, v36
	ds_load_b64 v[24:25], v22 offset:8
	v_mov_b64_e32 v[22:23], v[18:19]
; %bb.542:
	s_or_b32 exec_lo, exec_lo, s7
	v_add_nc_u32_e32 v28, 1, v26
	s_delay_alu instid0(VALU_DEP_1) | instskip(NEXT) | instid1(VALU_DEP_1)
	v_dual_cndmask_b32 v30, v26, v28, s13 :: v_dual_add_nc_u32 v26, 1, v27
	v_cmp_ge_i32_e64 s7, v30, v39
	s_and_saveexec_b32 s8, s7
	s_delay_alu instid0(SALU_CYCLE_1) | instskip(NEXT) | instid1(SALU_CYCLE_1)
	s_xor_b32 s7, exec_lo, s8
	s_or_saveexec_b32 s15, s7
	v_cndmask_b32_e64 v31, v26, v27, s13
	s_mov_b32 s14, 0
	s_xor_b32 exec_lo, exec_lo, s15
	s_cbranch_execz .LBB2_548
; %bb.543:
	s_delay_alu instid0(VALU_DEP_1)
	v_cmp_lt_i32_e64 s7, v31, v38
	s_wait_dscnt 0x0
	v_cmp_nlt_f32_e64 s8, v24, v22
	s_and_b32 s14, s7, s8
	s_mov_b32 s7, -1
	s_and_saveexec_b32 s8, s14
	s_cbranch_execz .LBB2_547
; %bb.544:
	s_mov_b32 s14, 0
	s_mov_b32 s16, exec_lo
	v_cmpx_eq_f32_e32 v24, v22
; %bb.545:
	v_cmp_lt_f32_e64 s7, v25, v23
	s_and_b32 s14, s7, exec_lo
; %bb.546:
	s_or_b32 exec_lo, exec_lo, s16
	s_delay_alu instid0(SALU_CYCLE_1)
	s_or_not1_b32 s7, s14, exec_lo
.LBB2_547:
	s_or_b32 exec_lo, exec_lo, s8
	s_delay_alu instid0(SALU_CYCLE_1)
	s_and_b32 s14, s7, exec_lo
.LBB2_548:
	s_or_b32 exec_lo, exec_lo, s15
	s_xor_b32 s7, s14, -1
                                        ; implicit-def: $vgpr26_vgpr27
	s_delay_alu instid0(SALU_CYCLE_1) | instskip(NEXT) | instid1(SALU_CYCLE_1)
	s_and_saveexec_b32 s8, s7
	s_xor_b32 s7, exec_lo, s8
; %bb.549:
	v_lshl_add_u32 v26, v31, 3, v36
	ds_load_b64 v[26:27], v26 offset:8
; %bb.550:
	s_or_saveexec_b32 s7, s7
	s_wait_dscnt 0x0
	v_mov_b64_e32 v[28:29], v[24:25]
	s_xor_b32 exec_lo, exec_lo, s7
; %bb.551:
	v_lshl_add_u32 v26, v30, 3, v36
	ds_load_b64 v[28:29], v26 offset:8
	v_mov_b64_e32 v[26:27], v[22:23]
; %bb.552:
	s_or_b32 exec_lo, exec_lo, s7
	v_add_nc_u32_e32 v32, 1, v30
	s_delay_alu instid0(VALU_DEP_1) | instskip(NEXT) | instid1(VALU_DEP_1)
	v_dual_cndmask_b32 v34, v30, v32, s14 :: v_dual_add_nc_u32 v30, 1, v31
	v_cmp_ge_i32_e64 s7, v34, v39
	s_and_saveexec_b32 s8, s7
	s_delay_alu instid0(SALU_CYCLE_1) | instskip(NEXT) | instid1(SALU_CYCLE_1)
	s_xor_b32 s7, exec_lo, s8
	s_or_saveexec_b32 s16, s7
	v_cndmask_b32_e64 v35, v30, v31, s14
	s_mov_b32 s15, 0
	s_xor_b32 exec_lo, exec_lo, s16
	s_cbranch_execz .LBB2_558
; %bb.553:
	s_delay_alu instid0(VALU_DEP_1)
	v_cmp_lt_i32_e64 s7, v35, v38
	s_wait_dscnt 0x0
	v_cmp_nlt_f32_e64 s8, v28, v26
	s_and_b32 s15, s7, s8
	s_mov_b32 s7, -1
	s_and_saveexec_b32 s8, s15
	s_cbranch_execz .LBB2_557
; %bb.554:
	s_mov_b32 s15, 0
	s_mov_b32 s17, exec_lo
	v_cmpx_eq_f32_e32 v28, v26
; %bb.555:
	v_cmp_lt_f32_e64 s7, v29, v27
	s_and_b32 s15, s7, exec_lo
; %bb.556:
	s_or_b32 exec_lo, exec_lo, s17
	s_delay_alu instid0(SALU_CYCLE_1)
	s_or_not1_b32 s7, s15, exec_lo
.LBB2_557:
	s_or_b32 exec_lo, exec_lo, s8
	s_delay_alu instid0(SALU_CYCLE_1)
	s_and_b32 s15, s7, exec_lo
.LBB2_558:
	s_or_b32 exec_lo, exec_lo, s16
	s_xor_b32 s7, s15, -1
                                        ; implicit-def: $vgpr30_vgpr31
	s_delay_alu instid0(SALU_CYCLE_1) | instskip(NEXT) | instid1(SALU_CYCLE_1)
	s_and_saveexec_b32 s8, s7
	s_xor_b32 s7, exec_lo, s8
; %bb.559:
	v_lshl_add_u32 v30, v35, 3, v36
                                        ; implicit-def: $vgpr36
	ds_load_b64 v[30:31], v30 offset:8
; %bb.560:
	s_or_saveexec_b32 s7, s7
	s_wait_dscnt 0x0
	v_mov_b64_e32 v[32:33], v[28:29]
	s_xor_b32 exec_lo, exec_lo, s7
; %bb.561:
	v_lshl_add_u32 v30, v34, 3, v36
	ds_load_b64 v[32:33], v30 offset:8
	v_mov_b64_e32 v[30:31], v[26:27]
; %bb.562:
	s_or_b32 exec_lo, exec_lo, s7
	v_add_nc_u32_e32 v36, 1, v34
	s_mov_b32 s8, 0
	s_mov_b32 s16, exec_lo
	s_delay_alu instid0(VALU_DEP_1) | instskip(NEXT) | instid1(VALU_DEP_1)
	v_cndmask_b32_e64 v34, v34, v36, s15
	v_cmpx_lt_i32_e64 v34, v39
	s_cbranch_execnz .LBB2_572
; %bb.563:
	s_or_b32 exec_lo, exec_lo, s16
	s_and_saveexec_b32 s7, vcc_lo
	s_cbranch_execnz .LBB2_577
.LBB2_564:
	s_or_b32 exec_lo, exec_lo, s7
	s_and_saveexec_b32 s7, s0
	s_cbranch_execnz .LBB2_578
.LBB2_565:
	s_or_b32 exec_lo, exec_lo, s7
	s_and_saveexec_b32 s0, s1
	s_cbranch_execnz .LBB2_579
.LBB2_566:
	s_or_b32 exec_lo, exec_lo, s0
	s_and_saveexec_b32 s0, s2
	s_cbranch_execnz .LBB2_580
.LBB2_567:
	s_or_b32 exec_lo, exec_lo, s0
	s_and_saveexec_b32 s0, s3
	s_cbranch_execnz .LBB2_581
.LBB2_568:
	s_or_b32 exec_lo, exec_lo, s0
	s_and_saveexec_b32 s0, s4
	s_cbranch_execnz .LBB2_582
.LBB2_569:
	s_or_b32 exec_lo, exec_lo, s0
	s_and_saveexec_b32 s0, s5
	s_cbranch_execnz .LBB2_583
.LBB2_570:
	s_or_b32 exec_lo, exec_lo, s0
	s_and_saveexec_b32 s0, s6
	s_cbranch_execnz .LBB2_584
.LBB2_571:
	s_endpgm
.LBB2_572:
	v_add_nc_u32_e32 v34, 1, v35
	s_wait_dscnt 0x0
	v_cmp_nlt_f32_e64 s7, v32, v30
	s_delay_alu instid0(VALU_DEP_2) | instskip(NEXT) | instid1(VALU_DEP_1)
	v_cndmask_b32_e64 v34, v34, v35, s15
	v_cmp_lt_i32_e64 s8, v34, v38
	s_and_b32 s17, s8, s7
	s_mov_b32 s7, -1
	s_and_saveexec_b32 s8, s17
	s_cbranch_execz .LBB2_576
; %bb.573:
	s_mov_b32 s17, 0
	s_mov_b32 s18, exec_lo
	v_cmpx_eq_f32_e32 v32, v30
; %bb.574:
	v_cmp_lt_f32_e64 s7, v33, v31
	s_and_b32 s17, s7, exec_lo
; %bb.575:
	s_or_b32 exec_lo, exec_lo, s18
	s_delay_alu instid0(SALU_CYCLE_1)
	s_or_not1_b32 s7, s17, exec_lo
.LBB2_576:
	s_or_b32 exec_lo, exec_lo, s8
	s_delay_alu instid0(SALU_CYCLE_1)
	s_and_b32 s8, s7, exec_lo
	s_or_b32 exec_lo, exec_lo, s16
	s_and_saveexec_b32 s7, vcc_lo
	s_cbranch_execz .LBB2_564
.LBB2_577:
	v_dual_cndmask_b32 v2, v2, v4, s9 :: v_dual_cndmask_b32 v3, v3, v5, s9
	global_store_b64 v[0:1], v[2:3], off
	s_wait_xcnt 0x0
	s_or_b32 exec_lo, exec_lo, s7
	s_and_saveexec_b32 s7, s0
	s_cbranch_execz .LBB2_565
.LBB2_578:
	v_dual_cndmask_b32 v2, v6, v8, s10 :: v_dual_cndmask_b32 v3, v7, v9, s10
	global_store_b64 v[0:1], v[2:3], off offset:8
	s_wait_xcnt 0x0
	s_or_b32 exec_lo, exec_lo, s7
	s_and_saveexec_b32 s0, s1
	s_cbranch_execz .LBB2_566
.LBB2_579:
	v_dual_cndmask_b32 v2, v10, v12, s11 :: v_dual_cndmask_b32 v3, v11, v13, s11
	global_store_b64 v[0:1], v[2:3], off offset:16
	s_wait_xcnt 0x0
	s_or_b32 exec_lo, exec_lo, s0
	s_and_saveexec_b32 s0, s2
	s_cbranch_execz .LBB2_567
.LBB2_580:
	v_dual_cndmask_b32 v2, v14, v16, s12 :: v_dual_cndmask_b32 v3, v15, v17, s12
	global_store_b64 v[0:1], v[2:3], off offset:24
	s_wait_xcnt 0x0
	s_or_b32 exec_lo, exec_lo, s0
	s_and_saveexec_b32 s0, s3
	s_cbranch_execz .LBB2_568
.LBB2_581:
	v_dual_cndmask_b32 v2, v18, v20, s13 :: v_dual_cndmask_b32 v3, v19, v21, s13
	global_store_b64 v[0:1], v[2:3], off offset:32
	s_wait_xcnt 0x0
	s_or_b32 exec_lo, exec_lo, s0
	s_and_saveexec_b32 s0, s4
	s_cbranch_execz .LBB2_569
.LBB2_582:
	v_dual_cndmask_b32 v2, v22, v24, s14 :: v_dual_cndmask_b32 v3, v23, v25, s14
	global_store_b64 v[0:1], v[2:3], off offset:40
	s_wait_xcnt 0x0
	s_or_b32 exec_lo, exec_lo, s0
	s_and_saveexec_b32 s0, s5
	s_cbranch_execz .LBB2_570
.LBB2_583:
	v_dual_cndmask_b32 v2, v26, v28, s15 :: v_dual_cndmask_b32 v3, v27, v29, s15
	global_store_b64 v[0:1], v[2:3], off offset:48
	s_wait_xcnt 0x0
	s_or_b32 exec_lo, exec_lo, s0
	s_and_saveexec_b32 s0, s6
	s_cbranch_execz .LBB2_571
.LBB2_584:
	s_wait_dscnt 0x0
	v_dual_cndmask_b32 v3, v31, v33, s8 :: v_dual_cndmask_b32 v2, v30, v32, s8
	global_store_b64 v[0:1], v[2:3], off offset:56
	s_endpgm
	.section	.rodata,"a",@progbits
	.p2align	6, 0x0
	.amdhsa_kernel _Z19sort_keys_segmentedILj256ELj32ELj8ELb0EN10test_utils16custom_test_typeIfEENS0_4lessEEvPT3_PKjT4_
		.amdhsa_group_segment_fixed_size 16448
		.amdhsa_private_segment_fixed_size 0
		.amdhsa_kernarg_size 20
		.amdhsa_user_sgpr_count 2
		.amdhsa_user_sgpr_dispatch_ptr 0
		.amdhsa_user_sgpr_queue_ptr 0
		.amdhsa_user_sgpr_kernarg_segment_ptr 1
		.amdhsa_user_sgpr_dispatch_id 0
		.amdhsa_user_sgpr_kernarg_preload_length 0
		.amdhsa_user_sgpr_kernarg_preload_offset 0
		.amdhsa_user_sgpr_private_segment_size 0
		.amdhsa_wavefront_size32 1
		.amdhsa_uses_dynamic_stack 0
		.amdhsa_enable_private_segment 0
		.amdhsa_system_sgpr_workgroup_id_x 1
		.amdhsa_system_sgpr_workgroup_id_y 0
		.amdhsa_system_sgpr_workgroup_id_z 0
		.amdhsa_system_sgpr_workgroup_info 0
		.amdhsa_system_vgpr_workitem_id 0
		.amdhsa_next_free_vgpr 43
		.amdhsa_next_free_sgpr 19
		.amdhsa_named_barrier_count 0
		.amdhsa_reserve_vcc 1
		.amdhsa_float_round_mode_32 0
		.amdhsa_float_round_mode_16_64 0
		.amdhsa_float_denorm_mode_32 3
		.amdhsa_float_denorm_mode_16_64 3
		.amdhsa_fp16_overflow 0
		.amdhsa_memory_ordered 1
		.amdhsa_forward_progress 1
		.amdhsa_inst_pref_size 118
		.amdhsa_round_robin_scheduling 0
		.amdhsa_exception_fp_ieee_invalid_op 0
		.amdhsa_exception_fp_denorm_src 0
		.amdhsa_exception_fp_ieee_div_zero 0
		.amdhsa_exception_fp_ieee_overflow 0
		.amdhsa_exception_fp_ieee_underflow 0
		.amdhsa_exception_fp_ieee_inexact 0
		.amdhsa_exception_int_div_zero 0
	.end_amdhsa_kernel
	.section	.text._Z19sort_keys_segmentedILj256ELj32ELj8ELb0EN10test_utils16custom_test_typeIfEENS0_4lessEEvPT3_PKjT4_,"axG",@progbits,_Z19sort_keys_segmentedILj256ELj32ELj8ELb0EN10test_utils16custom_test_typeIfEENS0_4lessEEvPT3_PKjT4_,comdat
.Lfunc_end2:
	.size	_Z19sort_keys_segmentedILj256ELj32ELj8ELb0EN10test_utils16custom_test_typeIfEENS0_4lessEEvPT3_PKjT4_, .Lfunc_end2-_Z19sort_keys_segmentedILj256ELj32ELj8ELb0EN10test_utils16custom_test_typeIfEENS0_4lessEEvPT3_PKjT4_
                                        ; -- End function
	.set _Z19sort_keys_segmentedILj256ELj32ELj8ELb0EN10test_utils16custom_test_typeIfEENS0_4lessEEvPT3_PKjT4_.num_vgpr, 43
	.set _Z19sort_keys_segmentedILj256ELj32ELj8ELb0EN10test_utils16custom_test_typeIfEENS0_4lessEEvPT3_PKjT4_.num_agpr, 0
	.set _Z19sort_keys_segmentedILj256ELj32ELj8ELb0EN10test_utils16custom_test_typeIfEENS0_4lessEEvPT3_PKjT4_.numbered_sgpr, 19
	.set _Z19sort_keys_segmentedILj256ELj32ELj8ELb0EN10test_utils16custom_test_typeIfEENS0_4lessEEvPT3_PKjT4_.num_named_barrier, 0
	.set _Z19sort_keys_segmentedILj256ELj32ELj8ELb0EN10test_utils16custom_test_typeIfEENS0_4lessEEvPT3_PKjT4_.private_seg_size, 0
	.set _Z19sort_keys_segmentedILj256ELj32ELj8ELb0EN10test_utils16custom_test_typeIfEENS0_4lessEEvPT3_PKjT4_.uses_vcc, 1
	.set _Z19sort_keys_segmentedILj256ELj32ELj8ELb0EN10test_utils16custom_test_typeIfEENS0_4lessEEvPT3_PKjT4_.uses_flat_scratch, 0
	.set _Z19sort_keys_segmentedILj256ELj32ELj8ELb0EN10test_utils16custom_test_typeIfEENS0_4lessEEvPT3_PKjT4_.has_dyn_sized_stack, 0
	.set _Z19sort_keys_segmentedILj256ELj32ELj8ELb0EN10test_utils16custom_test_typeIfEENS0_4lessEEvPT3_PKjT4_.has_recursion, 0
	.set _Z19sort_keys_segmentedILj256ELj32ELj8ELb0EN10test_utils16custom_test_typeIfEENS0_4lessEEvPT3_PKjT4_.has_indirect_call, 0
	.section	.AMDGPU.csdata,"",@progbits
; Kernel info:
; codeLenInByte = 15100
; TotalNumSgprs: 21
; NumVgprs: 43
; ScratchSize: 0
; MemoryBound: 0
; FloatMode: 240
; IeeeMode: 1
; LDSByteSize: 16448 bytes/workgroup (compile time only)
; SGPRBlocks: 0
; VGPRBlocks: 2
; NumSGPRsForWavesPerEU: 21
; NumVGPRsForWavesPerEU: 43
; NamedBarCnt: 0
; Occupancy: 16
; WaveLimiterHint : 0
; COMPUTE_PGM_RSRC2:SCRATCH_EN: 0
; COMPUTE_PGM_RSRC2:USER_SGPR: 2
; COMPUTE_PGM_RSRC2:TRAP_HANDLER: 0
; COMPUTE_PGM_RSRC2:TGID_X_EN: 1
; COMPUTE_PGM_RSRC2:TGID_Y_EN: 0
; COMPUTE_PGM_RSRC2:TGID_Z_EN: 0
; COMPUTE_PGM_RSRC2:TIDIG_COMP_CNT: 0
	.section	.text._Z19sort_keys_segmentedILj256ELj32ELj4ELb0EN10test_utils16custom_test_typeIfEENS0_4lessEEvPT3_PKjT4_,"axG",@progbits,_Z19sort_keys_segmentedILj256ELj32ELj4ELb0EN10test_utils16custom_test_typeIfEENS0_4lessEEvPT3_PKjT4_,comdat
	.protected	_Z19sort_keys_segmentedILj256ELj32ELj4ELb0EN10test_utils16custom_test_typeIfEENS0_4lessEEvPT3_PKjT4_ ; -- Begin function _Z19sort_keys_segmentedILj256ELj32ELj4ELb0EN10test_utils16custom_test_typeIfEENS0_4lessEEvPT3_PKjT4_
	.globl	_Z19sort_keys_segmentedILj256ELj32ELj4ELb0EN10test_utils16custom_test_typeIfEENS0_4lessEEvPT3_PKjT4_
	.p2align	8
	.type	_Z19sort_keys_segmentedILj256ELj32ELj4ELb0EN10test_utils16custom_test_typeIfEENS0_4lessEEvPT3_PKjT4_,@function
_Z19sort_keys_segmentedILj256ELj32ELj4ELb0EN10test_utils16custom_test_typeIfEENS0_4lessEEvPT3_PKjT4_: ; @_Z19sort_keys_segmentedILj256ELj32ELj4ELb0EN10test_utils16custom_test_typeIfEENS0_4lessEEvPT3_PKjT4_
; %bb.0:
	s_load_b128 s[0:3], s[0:1], 0x0
	s_bfe_u32 s4, ttmp6, 0x4000c
	s_and_b32 s5, ttmp6, 15
	s_add_co_i32 s4, s4, 1
	s_getreg_b32 s6, hwreg(HW_REG_IB_STS2, 6, 4)
	s_mul_i32 s4, ttmp9, s4
	v_dual_mov_b32 v5, 0 :: v_dual_lshrrev_b32 v14, 5, v0
	s_add_co_i32 s5, s5, s4
	s_cmp_eq_u32 s6, 0
	v_mbcnt_lo_u32_b32 v2, -1, 0
	s_cselect_b32 s4, ttmp9, s5
	s_delay_alu instid0(SALU_CYCLE_1) | instskip(NEXT) | instid1(VALU_DEP_1)
	v_lshl_or_b32 v0, s4, 3, v14
	v_dual_lshlrev_b32 v19, 2, v2 :: v_dual_lshlrev_b32 v4, 7, v0
	s_wait_kmcnt 0x0
	global_load_b32 v18, v0, s[2:3] scale_offset
	s_wait_xcnt 0x0
	v_lshl_add_u64 v[0:1], v[4:5], 3, s[0:1]
	v_dual_lshlrev_b32 v4, 5, v2 :: v_dual_mov_b32 v2, v5
	s_delay_alu instid0(VALU_DEP_1)
	v_add_nc_u64_e32 v[0:1], v[0:1], v[4:5]
	s_wait_loadcnt 0x0
	v_cmp_lt_u32_e32 vcc_lo, v19, v18
	s_and_saveexec_b32 s0, vcc_lo
	s_cbranch_execz .LBB3_2
; %bb.1:
	global_load_b64 v[2:3], v[0:1], off
	s_wait_loadcnt 0x0
	v_dual_mov_b32 v5, v2 :: v_dual_mov_b32 v2, v3
.LBB3_2:
	s_or_b32 exec_lo, exec_lo, s0
	v_or_b32_e32 v6, 1, v19
	v_mov_b64_e32 v[12:13], 0
	s_delay_alu instid0(VALU_DEP_2)
	v_cmp_lt_u32_e64 s0, v6, v18
	s_and_saveexec_b32 s1, s0
	s_cbranch_execz .LBB3_4
; %bb.3:
	global_load_b64 v[12:13], v[0:1], off offset:8
.LBB3_4:
	s_wait_xcnt 0x0
	s_or_b32 exec_lo, exec_lo, s1
	v_dual_mov_b32 v8, 0 :: v_dual_bitop2_b32 v4, 2, v19 bitop3:0x54
	v_dual_mov_b32 v10, 0 :: v_dual_mov_b32 v11, 0
	s_delay_alu instid0(VALU_DEP_2)
	v_cmp_lt_u32_e64 s1, v4, v18
	s_and_saveexec_b32 s2, s1
	s_cbranch_execz .LBB3_6
; %bb.5:
	global_load_b64 v[10:11], v[0:1], off offset:16
.LBB3_6:
	s_wait_xcnt 0x0
	s_or_b32 exec_lo, exec_lo, s2
	v_dual_mov_b32 v9, 0 :: v_dual_bitop2_b32 v3, 3, v19 bitop3:0x54
	s_delay_alu instid0(VALU_DEP_1)
	v_cmp_lt_u32_e64 s2, v3, v18
	s_and_saveexec_b32 s3, s2
	s_cbranch_execz .LBB3_8
; %bb.7:
	global_load_b64 v[8:9], v[0:1], off offset:24
.LBB3_8:
	s_wait_xcnt 0x0
	s_or_b32 exec_lo, exec_lo, s3
	s_get_pc_i64 s[6:7]
	s_add_nc_u64 s[6:7], s[6:7], _ZN9sort_lastIN10test_utils4lessENS0_16custom_test_typeIfEEE5valueE@rel64+4
	v_cmp_lt_i32_e64 s3, v6, v18
	s_load_b64 s[4:5], s[6:7], 0x0
	s_wait_kmcnt 0x0
	v_mov_b64_e32 v[6:7], s[4:5]
	v_dual_mov_b32 v15, s4 :: v_dual_mov_b32 v16, s5
	s_and_saveexec_b32 s6, s3
	s_cbranch_execz .LBB3_14
; %bb.9:
	s_mov_b32 s8, -1
	s_mov_b32 s7, exec_lo
	s_wait_loadcnt 0x0
	v_cmpx_nlt_f32_e32 s4, v12
	s_cbranch_execz .LBB3_13
; %bb.10:
	s_mov_b32 s8, 0
	s_mov_b32 s9, exec_lo
	v_cmpx_eq_f32_e32 s4, v12
; %bb.11:
	v_cmp_lt_f32_e64 s3, s5, v13
	s_and_b32 s8, s3, exec_lo
; %bb.12:
	s_or_b32 exec_lo, exec_lo, s9
	s_delay_alu instid0(SALU_CYCLE_1)
	s_or_not1_b32 s8, s8, exec_lo
.LBB3_13:
	s_or_b32 exec_lo, exec_lo, s7
	v_mov_b64_e32 v[6:7], v[12:13]
	v_cndmask_b32_e64 v15, s4, v12, s8
	v_cndmask_b32_e64 v16, s5, v13, s8
.LBB3_14:
	s_or_b32 exec_lo, exec_lo, s6
	v_cmp_lt_i32_e64 s3, v4, v18
	s_wait_loadcnt 0x0
	s_delay_alu instid0(VALU_DEP_2)
	v_dual_mov_b32 v12, v15 :: v_dual_mov_b32 v4, v16
	s_and_saveexec_b32 s4, s3
	s_cbranch_execz .LBB3_20
; %bb.15:
	s_mov_b32 s6, -1
	s_mov_b32 s5, exec_lo
	v_cmpx_nlt_f32_e32 v15, v10
	s_cbranch_execz .LBB3_19
; %bb.16:
	s_mov_b32 s6, 0
	s_mov_b32 s7, exec_lo
	v_cmpx_eq_f32_e32 v15, v10
; %bb.17:
	v_cmp_lt_f32_e64 s3, v16, v11
	s_and_b32 s6, s3, exec_lo
; %bb.18:
	s_or_b32 exec_lo, exec_lo, s7
	s_delay_alu instid0(SALU_CYCLE_1)
	s_or_not1_b32 s6, s6, exec_lo
.LBB3_19:
	s_or_b32 exec_lo, exec_lo, s5
	v_dual_cndmask_b32 v15, v15, v10, s6 :: v_dual_cndmask_b32 v16, v16, v11, s6
	v_dual_mov_b32 v12, v10 :: v_dual_mov_b32 v4, v11
.LBB3_20:
	s_or_b32 exec_lo, exec_lo, s4
	v_cmp_lt_i32_e64 s3, v3, v18
	v_mov_b32_e32 v3, v6
	s_mov_b32 s9, exec_lo
	v_dual_cndmask_b32 v9, v16, v9, s3 :: v_dual_cndmask_b32 v10, v15, v8, s3
	v_cmpx_lt_i32_e64 v19, v18
	s_cbranch_execz .LBB3_34
; %bb.21:
	s_delay_alu instid0(VALU_DEP_2)
	v_cmp_lt_f32_e64 s5, v10, v12
	s_mov_b32 s6, exec_lo
	v_cmpx_nlt_f32_e32 v10, v12
; %bb.22:
	v_cmp_eq_f32_e64 s3, v10, v12
	v_cmp_lt_f32_e64 s4, v9, v4
	s_and_b32 s3, s3, s4
	s_and_not1_b32 s4, s5, exec_lo
	s_and_b32 s3, s3, exec_lo
	s_delay_alu instid0(SALU_CYCLE_1)
	s_or_b32 s5, s4, s3
; %bb.23:
	s_or_b32 exec_lo, exec_lo, s6
	v_dual_mov_b32 v11, v9 :: v_dual_mov_b32 v16, v10
	s_and_saveexec_b32 s3, s5
; %bb.24:
	v_dual_mov_b32 v11, v4 :: v_dual_mov_b32 v16, v12
	v_dual_mov_b32 v4, v9 :: v_dual_mov_b32 v12, v10
; %bb.25:
	s_or_b32 exec_lo, exec_lo, s3
	v_cmp_neq_f32_e64 s3, v6, v5
	v_cmp_nlt_f32_e64 s4, v7, v2
	v_cmp_nlt_f32_e64 s5, v6, v5
	s_mov_b32 s6, exec_lo
	s_or_b32 s3, s3, s4
	s_delay_alu instid0(SALU_CYCLE_1) | instskip(SKIP_2) | instid1(VALU_DEP_1)
	s_and_b32 s3, s5, s3
	s_mov_b32 s5, -1
	v_dual_cndmask_b32 v8, v2, v7, s3 :: v_dual_cndmask_b32 v13, v5, v6, s3
	v_cmpx_nlt_f32_e32 v12, v13
	s_xor_b32 s6, exec_lo, s6
; %bb.26:
	v_cmp_eq_f32_e64 s4, v12, v13
	s_delay_alu instid0(VALU_DEP_3) | instskip(SKIP_1) | instid1(SALU_CYCLE_1)
	v_cmp_lt_f32_e64 s5, v4, v8
	s_and_b32 s4, s4, s5
	s_or_not1_b32 s5, s4, exec_lo
; %bb.27:
	s_or_b32 exec_lo, exec_lo, s6
	v_dual_mov_b32 v15, v4 :: v_dual_mov_b32 v10, v12
	s_and_saveexec_b32 s4, s5
; %bb.28:
	v_dual_mov_b32 v15, v8 :: v_dual_mov_b32 v10, v13
	v_dual_mov_b32 v8, v4 :: v_dual_mov_b32 v13, v12
; %bb.29:
	s_or_b32 exec_lo, exec_lo, s4
	v_dual_cndmask_b32 v17, v6, v5, s3 :: v_dual_cndmask_b32 v2, v7, v2, s3
	s_delay_alu instid0(VALU_DEP_3) | instskip(SKIP_2) | instid1(VALU_DEP_4)
	v_cmp_neq_f32_e64 s3, v16, v10
	v_cmp_nlt_f32_e64 s4, v11, v15
	v_cmp_nlt_f32_e64 s7, v16, v10
	v_cmp_neq_f32_e64 s5, v13, v17
	v_cmp_nlt_f32_e64 s6, v8, v2
	v_cmp_nlt_f32_e64 s8, v13, v17
	s_or_b32 s3, s3, s4
                                        ; implicit-def: $vgpr12
                                        ; implicit-def: $vgpr7
	s_delay_alu instid0(SALU_CYCLE_1) | instskip(SKIP_3) | instid1(SALU_CYCLE_1)
	s_and_b32 s3, s7, s3
	s_or_b32 s4, s5, s6
	v_cndmask_b32_e64 v4, v11, v15, s3
	s_and_b32 s4, s8, s4
	v_dual_cndmask_b32 v3, v16, v10, s3 :: v_dual_cndmask_b32 v6, v2, v8, s4
	v_dual_cndmask_b32 v9, v17, v13, s4 :: v_dual_cndmask_b32 v8, v8, v2, s4
	v_cndmask_b32_e64 v10, v10, v16, s3
	s_delay_alu instid0(VALU_DEP_3) | instskip(NEXT) | instid1(VALU_DEP_3)
	v_cmp_nlt_f32_e64 s6, v4, v6
	v_cmp_neq_f32_e64 s5, v3, v9
	v_cmp_lt_f32_e64 s7, v3, v9
	s_or_b32 s5, s5, s6
	s_delay_alu instid0(SALU_CYCLE_1) | instskip(NEXT) | instid1(SALU_CYCLE_1)
	s_xor_b32 s5, s5, -1
	s_or_b32 s5, s7, s5
	s_delay_alu instid0(SALU_CYCLE_1) | instskip(NEXT) | instid1(SALU_CYCLE_1)
	s_and_saveexec_b32 s6, s5
	s_xor_b32 s5, exec_lo, s6
; %bb.30:
	v_dual_mov_b32 v7, v4 :: v_dual_mov_b32 v2, v8
	v_mov_b32_e32 v12, v9
                                        ; implicit-def: $vgpr8_vgpr9
	s_delay_alu instid0(VALU_DEP_2)
	v_mov_b64_e32 v[4:5], v[6:7]
                                        ; implicit-def: $vgpr6
; %bb.31:
	s_and_not1_saveexec_b32 s5, s5
; %bb.32:
	v_dual_mov_b32 v12, v3 :: v_dual_mov_b32 v7, v6
	v_mov_b64_e32 v[2:3], v[8:9]
; %bb.33:
	s_or_b32 exec_lo, exec_lo, s5
	v_dual_cndmask_b32 v5, v13, v17, s4 :: v_dual_cndmask_b32 v9, v15, v11, s3
.LBB3_34:
	s_or_b32 exec_lo, exec_lo, s9
	v_and_b32_e32 v6, 0x78, v19
	v_mul_u32_u24_e32 v20, 0x408, v14
	; wave barrier
	s_mov_b32 s5, 0
	s_delay_alu instid0(VALU_DEP_2) | instskip(SKIP_1) | instid1(VALU_DEP_1)
	v_dual_lshlrev_b32 v13, 3, v19 :: v_dual_min_i32 v6, v18, v6
	s_mov_b32 s4, exec_lo
	v_add_min_i32_e64 v22, v6, 4, v18
	v_and_b32_e32 v8, 4, v19
	s_delay_alu instid0(VALU_DEP_3)
	v_mad_u32_u24 v21, 0x408, v14, v13
	ds_store_2addr_b32 v21, v2, v3 offset0:1 offset1:2
	ds_store_2addr_b32 v21, v7, v12 offset0:3 offset1:4
	;; [unrolled: 1-line block ×3, first 2 shown]
	v_add_min_i32_e64 v23, v22, 4, v18
	v_sub_nc_u32_e32 v16, v22, v6
	v_min_i32_e32 v11, v18, v8
	ds_store_2addr_b32 v21, v5, v9 offset1:7
	v_sub_nc_u32_e32 v8, v23, v22
	; wave barrier
	v_dual_lshlrev_b32 v17, 3, v6 :: v_dual_min_i32 v13, v11, v16
	s_delay_alu instid0(VALU_DEP_2) | instskip(SKIP_1) | instid1(VALU_DEP_3)
	v_sub_nc_u32_e32 v15, v11, v8
	v_cmp_ge_i32_e64 s3, v11, v8
	v_mad_u32_u24 v2, 0x408, v14, v17
	s_delay_alu instid0(VALU_DEP_2) | instskip(NEXT) | instid1(VALU_DEP_1)
	v_cndmask_b32_e64 v8, 0, v15, s3
	v_cmpx_lt_i32_e64 v8, v13
	s_cbranch_execz .LBB3_42
; %bb.35:
	v_dual_lshlrev_b32 v3, 3, v22 :: v_dual_lshlrev_b32 v4, 3, v11
                                        ; implicit-def: $sgpr6
	s_delay_alu instid0(VALU_DEP_1)
	v_add3_u32 v3, v20, v3, v4
	s_branch .LBB3_38
.LBB3_36:                               ;   in Loop: Header=BB3_38 Depth=1
	s_or_b32 exec_lo, exec_lo, s9
	s_delay_alu instid0(SALU_CYCLE_1) | instskip(SKIP_1) | instid1(SALU_CYCLE_1)
	s_and_not1_b32 s3, s6, exec_lo
	s_and_b32 s6, s8, exec_lo
	s_or_b32 s6, s3, s6
.LBB3_37:                               ;   in Loop: Header=BB3_38 Depth=1
	s_or_b32 exec_lo, exec_lo, s7
	v_dual_add_nc_u32 v5, 1, v4 :: v_dual_cndmask_b32 v13, v13, v4, s6
	s_delay_alu instid0(VALU_DEP_1) | instskip(NEXT) | instid1(VALU_DEP_1)
	v_cndmask_b32_e64 v8, v5, v8, s6
	v_cmp_ge_i32_e64 s3, v8, v13
	s_or_b32 s5, s3, s5
	s_delay_alu instid0(SALU_CYCLE_1)
	s_and_not1_b32 exec_lo, exec_lo, s5
	s_cbranch_execz .LBB3_41
.LBB3_38:                               ; =>This Inner Loop Header: Depth=1
	v_sub_nc_u32_e32 v4, v13, v8
	s_or_b32 s6, s6, exec_lo
	s_mov_b32 s7, exec_lo
	s_delay_alu instid0(VALU_DEP_1) | instskip(NEXT) | instid1(VALU_DEP_1)
	v_lshrrev_b32_e32 v4, 1, v4
	v_add_nc_u32_e32 v4, v4, v8
	s_delay_alu instid0(VALU_DEP_1) | instskip(SKIP_1) | instid1(VALU_DEP_2)
	v_not_b32_e32 v7, v4
	v_lshl_add_u32 v5, v4, 3, v2
	v_lshl_add_u32 v7, v7, 3, v3
	ds_load_b32 v9, v5
	ds_load_b32 v10, v7
	s_wait_dscnt 0x0
	v_cmpx_nlt_f32_e32 v10, v9
	s_cbranch_execz .LBB3_37
; %bb.39:                               ;   in Loop: Header=BB3_38 Depth=1
	s_mov_b32 s8, 0
	s_mov_b32 s9, exec_lo
	v_cmpx_eq_f32_e32 v10, v9
	s_cbranch_execz .LBB3_36
; %bb.40:                               ;   in Loop: Header=BB3_38 Depth=1
	ds_load_b32 v7, v7 offset:4
	ds_load_b32 v5, v5 offset:4
	s_wait_dscnt 0x0
	v_cmp_lt_f32_e64 s3, v7, v5
	s_and_b32 s8, s3, exec_lo
	s_branch .LBB3_36
.LBB3_41:
	s_or_b32 exec_lo, exec_lo, s5
.LBB3_42:
	s_delay_alu instid0(SALU_CYCLE_1) | instskip(SKIP_2) | instid1(VALU_DEP_2)
	s_or_b32 exec_lo, exec_lo, s4
	v_add_nc_u32_e32 v3, v22, v11
	v_lshl_add_u32 v9, v8, 3, v2
	v_sub_nc_u32_e32 v10, v3, v8
	s_delay_alu instid0(VALU_DEP_1) | instskip(SKIP_4) | instid1(SALU_CYCLE_1)
	v_lshl_add_u32 v11, v10, 3, v20
	v_cmp_le_i32_e64 s3, v23, v10
	ds_load_b64 v[2:3], v9
	ds_load_b64 v[4:5], v11
	s_and_saveexec_b32 s4, s3
	s_xor_b32 s3, exec_lo, s4
	s_delay_alu instid0(SALU_CYCLE_1)
	s_or_saveexec_b32 s6, s3
	v_add_nc_u32_e32 v12, v8, v6
	s_mov_b32 s5, 0
	s_xor_b32 exec_lo, exec_lo, s6
	s_cbranch_execz .LBB3_48
; %bb.43:
	s_delay_alu instid0(VALU_DEP_1)
	v_cmp_gt_i32_e64 s3, v22, v12
	s_wait_dscnt 0x0
	v_cmp_nlt_f32_e64 s4, v4, v2
	s_and_b32 s5, s3, s4
	s_mov_b32 s3, -1
	s_and_saveexec_b32 s4, s5
	s_cbranch_execz .LBB3_47
; %bb.44:
	s_mov_b32 s5, 0
	s_mov_b32 s7, exec_lo
	v_cmpx_eq_f32_e32 v4, v2
; %bb.45:
	v_cmp_lt_f32_e64 s3, v5, v3
	s_and_b32 s5, s3, exec_lo
; %bb.46:
	s_or_b32 exec_lo, exec_lo, s7
	s_delay_alu instid0(SALU_CYCLE_1)
	s_or_not1_b32 s3, s5, exec_lo
.LBB3_47:
	s_or_b32 exec_lo, exec_lo, s4
	s_delay_alu instid0(SALU_CYCLE_1)
	s_and_b32 s5, s3, exec_lo
.LBB3_48:
	s_or_b32 exec_lo, exec_lo, s6
	s_xor_b32 s3, s5, -1
                                        ; implicit-def: $vgpr6_vgpr7
	s_delay_alu instid0(SALU_CYCLE_1) | instskip(NEXT) | instid1(SALU_CYCLE_1)
	s_and_saveexec_b32 s4, s3
	s_xor_b32 s3, exec_lo, s4
; %bb.49:
	ds_load_b64 v[6:7], v9 offset:8
                                        ; implicit-def: $vgpr11
; %bb.50:
	s_or_saveexec_b32 s3, s3
	s_wait_dscnt 0x0
	v_mov_b64_e32 v[8:9], v[4:5]
	s_xor_b32 exec_lo, exec_lo, s3
; %bb.51:
	ds_load_b64 v[8:9], v11 offset:8
	v_mov_b64_e32 v[6:7], v[2:3]
; %bb.52:
	s_or_b32 exec_lo, exec_lo, s3
	v_dual_add_nc_u32 v11, 1, v10 :: v_dual_add_nc_u32 v13, 1, v12
	s_mov_b32 s6, 0
	s_mov_b32 s7, exec_lo
	s_delay_alu instid0(VALU_DEP_1) | instskip(NEXT) | instid1(VALU_DEP_1)
	v_dual_cndmask_b32 v15, v10, v11, s5 :: v_dual_cndmask_b32 v14, v13, v12, s5
	v_cmpx_lt_i32_e64 v15, v23
	s_cbranch_execz .LBB3_58
; %bb.53:
	s_delay_alu instid0(VALU_DEP_2)
	v_cmp_lt_i32_e64 s3, v14, v22
	s_wait_dscnt 0x0
	v_cmp_nlt_f32_e64 s4, v8, v6
	s_and_b32 s6, s3, s4
	s_mov_b32 s3, -1
	s_and_saveexec_b32 s4, s6
	s_cbranch_execz .LBB3_57
; %bb.54:
	s_mov_b32 s6, 0
	s_mov_b32 s8, exec_lo
	v_cmpx_eq_f32_e32 v8, v6
; %bb.55:
	v_cmp_lt_f32_e64 s3, v9, v7
	s_and_b32 s6, s3, exec_lo
; %bb.56:
	s_or_b32 exec_lo, exec_lo, s8
	s_delay_alu instid0(SALU_CYCLE_1)
	s_or_not1_b32 s3, s6, exec_lo
.LBB3_57:
	s_or_b32 exec_lo, exec_lo, s4
	s_delay_alu instid0(SALU_CYCLE_1)
	s_and_b32 s6, s3, exec_lo
.LBB3_58:
	s_or_b32 exec_lo, exec_lo, s7
	s_xor_b32 s3, s6, -1
                                        ; implicit-def: $vgpr10_vgpr11
	s_delay_alu instid0(SALU_CYCLE_1) | instskip(NEXT) | instid1(SALU_CYCLE_1)
	s_and_saveexec_b32 s4, s3
	s_xor_b32 s3, exec_lo, s4
; %bb.59:
	v_lshl_add_u32 v10, v14, 3, v20
	ds_load_b64 v[10:11], v10 offset:8
; %bb.60:
	s_or_saveexec_b32 s3, s3
	s_wait_dscnt 0x0
	v_mov_b64_e32 v[12:13], v[8:9]
	s_xor_b32 exec_lo, exec_lo, s3
; %bb.61:
	v_lshl_add_u32 v10, v15, 3, v20
	ds_load_b64 v[12:13], v10 offset:8
	v_mov_b64_e32 v[10:11], v[6:7]
; %bb.62:
	s_or_b32 exec_lo, exec_lo, s3
	v_add_nc_u32_e32 v16, 1, v15
	s_delay_alu instid0(VALU_DEP_1) | instskip(NEXT) | instid1(VALU_DEP_1)
	v_dual_cndmask_b32 v24, v15, v16, s6 :: v_dual_add_nc_u32 v15, 1, v14
	v_cmp_ge_i32_e64 s3, v24, v23
	s_and_saveexec_b32 s4, s3
	s_delay_alu instid0(SALU_CYCLE_1) | instskip(NEXT) | instid1(SALU_CYCLE_1)
	s_xor_b32 s3, exec_lo, s4
	s_or_saveexec_b32 s8, s3
	v_cndmask_b32_e64 v25, v15, v14, s6
	s_mov_b32 s7, 0
	s_xor_b32 exec_lo, exec_lo, s8
	s_cbranch_execz .LBB3_68
; %bb.63:
	s_delay_alu instid0(VALU_DEP_1)
	v_cmp_lt_i32_e64 s3, v25, v22
	s_wait_dscnt 0x0
	v_cmp_nlt_f32_e64 s4, v12, v10
	s_and_b32 s7, s3, s4
	s_mov_b32 s3, -1
	s_and_saveexec_b32 s4, s7
	s_cbranch_execz .LBB3_67
; %bb.64:
	s_mov_b32 s7, 0
	s_mov_b32 s9, exec_lo
	v_cmpx_eq_f32_e32 v12, v10
; %bb.65:
	v_cmp_lt_f32_e64 s3, v13, v11
	s_and_b32 s7, s3, exec_lo
; %bb.66:
	s_or_b32 exec_lo, exec_lo, s9
	s_delay_alu instid0(SALU_CYCLE_1)
	s_or_not1_b32 s3, s7, exec_lo
.LBB3_67:
	s_or_b32 exec_lo, exec_lo, s4
	s_delay_alu instid0(SALU_CYCLE_1)
	s_and_b32 s7, s3, exec_lo
.LBB3_68:
	s_or_b32 exec_lo, exec_lo, s8
	s_xor_b32 s3, s7, -1
                                        ; implicit-def: $vgpr14_vgpr15
	s_delay_alu instid0(SALU_CYCLE_1) | instskip(NEXT) | instid1(SALU_CYCLE_1)
	s_and_saveexec_b32 s4, s3
	s_xor_b32 s3, exec_lo, s4
; %bb.69:
	v_lshl_add_u32 v14, v25, 3, v20
	ds_load_b64 v[14:15], v14 offset:8
; %bb.70:
	s_or_saveexec_b32 s3, s3
	s_wait_dscnt 0x0
	v_mov_b64_e32 v[16:17], v[12:13]
	s_xor_b32 exec_lo, exec_lo, s3
; %bb.71:
	v_lshl_add_u32 v14, v24, 3, v20
	ds_load_b64 v[16:17], v14 offset:8
	v_mov_b64_e32 v[14:15], v[10:11]
; %bb.72:
	s_or_b32 exec_lo, exec_lo, s3
	v_add_nc_u32_e32 v26, 1, v24
	s_mov_b32 s4, 0
	s_mov_b32 s8, exec_lo
	s_delay_alu instid0(VALU_DEP_1) | instskip(NEXT) | instid1(VALU_DEP_1)
	v_cndmask_b32_e64 v24, v24, v26, s7
	v_cmpx_lt_i32_e64 v24, v23
	s_cbranch_execz .LBB3_78
; %bb.73:
	v_add_nc_u32_e32 v23, 1, v25
	s_wait_dscnt 0x0
	v_cmp_nlt_f32_e64 s3, v16, v14
	s_delay_alu instid0(VALU_DEP_2) | instskip(NEXT) | instid1(VALU_DEP_1)
	v_cndmask_b32_e64 v23, v23, v25, s7
	v_cmp_lt_i32_e64 s4, v23, v22
	s_and_b32 s9, s4, s3
	s_mov_b32 s3, -1
	s_and_saveexec_b32 s4, s9
	s_cbranch_execz .LBB3_77
; %bb.74:
	s_mov_b32 s9, 0
	s_mov_b32 s10, exec_lo
	v_cmpx_eq_f32_e32 v16, v14
; %bb.75:
	v_cmp_lt_f32_e64 s3, v17, v15
	s_and_b32 s9, s3, exec_lo
; %bb.76:
	s_or_b32 exec_lo, exec_lo, s10
	s_delay_alu instid0(SALU_CYCLE_1)
	s_or_not1_b32 s3, s9, exec_lo
.LBB3_77:
	s_or_b32 exec_lo, exec_lo, s4
	s_delay_alu instid0(SALU_CYCLE_1)
	s_and_b32 s4, s3, exec_lo
.LBB3_78:
	s_or_b32 exec_lo, exec_lo, s8
	v_and_b32_e32 v22, 0x70, v19
	v_dual_cndmask_b32 v12, v10, v12, s7 :: v_dual_bitop2_b32 v25, 12, v19 bitop3:0x40
	v_dual_cndmask_b32 v9, v7, v9, s6 :: v_dual_cndmask_b32 v4, v2, v4, s5
	s_delay_alu instid0(VALU_DEP_3) | instskip(NEXT) | instid1(VALU_DEP_3)
	v_min_i32_e32 v24, v18, v22
	v_min_i32_e32 v10, v18, v25
	v_dual_cndmask_b32 v13, v11, v13, s7 :: v_dual_cndmask_b32 v8, v6, v8, s6
	s_wait_dscnt 0x0
	v_dual_cndmask_b32 v15, v15, v17, s4 :: v_dual_cndmask_b32 v14, v14, v16, s4
	v_add_min_i32_e64 v22, v24, 8, v18
	s_mov_b32 s4, exec_lo
	; wave barrier
	v_cndmask_b32_e64 v5, v3, v5, s5
	s_delay_alu instid0(VALU_DEP_2) | instskip(SKIP_3) | instid1(VALU_DEP_1)
	v_add_min_i32_e64 v23, v22, 8, v18
	ds_store_2addr_b64 v21, v[4:5], v[8:9] offset1:1
	ds_store_2addr_b64 v21, v[12:13], v[14:15] offset0:2 offset1:3
	v_dual_sub_nc_u32 v25, v23, v22 :: v_dual_sub_nc_u32 v7, v22, v24
	; wave barrier
	v_sub_nc_u32_e32 v2, v10, v25
	v_cmp_ge_i32_e64 s3, v10, v25
	s_delay_alu instid0(VALU_DEP_1) | instskip(SKIP_1) | instid1(VALU_DEP_2)
	v_dual_cndmask_b32 v6, 0, v2, s3 :: v_dual_min_i32 v3, v10, v7
	v_lshl_add_u32 v2, v24, 3, v20
	v_cmpx_lt_i32_e64 v6, v3
	s_cbranch_execz .LBB3_86
; %bb.79:
	v_lshlrev_b32_e32 v4, 3, v22
	v_lshlrev_b32_e32 v5, 3, v10
	s_mov_b32 s5, 0
                                        ; implicit-def: $sgpr6
	s_delay_alu instid0(VALU_DEP_1)
	v_add3_u32 v4, v20, v4, v5
	s_branch .LBB3_82
.LBB3_80:                               ;   in Loop: Header=BB3_82 Depth=1
	s_or_b32 exec_lo, exec_lo, s9
	s_delay_alu instid0(SALU_CYCLE_1) | instskip(SKIP_1) | instid1(SALU_CYCLE_1)
	s_and_not1_b32 s3, s6, exec_lo
	s_and_b32 s6, s8, exec_lo
	s_or_b32 s6, s3, s6
.LBB3_81:                               ;   in Loop: Header=BB3_82 Depth=1
	s_or_b32 exec_lo, exec_lo, s7
	v_dual_add_nc_u32 v7, 1, v5 :: v_dual_cndmask_b32 v3, v3, v5, s6
	s_delay_alu instid0(VALU_DEP_1) | instskip(NEXT) | instid1(VALU_DEP_1)
	v_cndmask_b32_e64 v6, v7, v6, s6
	v_cmp_ge_i32_e64 s3, v6, v3
	s_or_b32 s5, s3, s5
	s_delay_alu instid0(SALU_CYCLE_1)
	s_and_not1_b32 exec_lo, exec_lo, s5
	s_cbranch_execz .LBB3_85
.LBB3_82:                               ; =>This Inner Loop Header: Depth=1
	v_sub_nc_u32_e32 v5, v3, v6
	s_or_b32 s6, s6, exec_lo
	s_mov_b32 s7, exec_lo
	s_delay_alu instid0(VALU_DEP_1) | instskip(NEXT) | instid1(VALU_DEP_1)
	v_lshrrev_b32_e32 v5, 1, v5
	v_add_nc_u32_e32 v5, v5, v6
	s_delay_alu instid0(VALU_DEP_1) | instskip(SKIP_1) | instid1(VALU_DEP_2)
	v_not_b32_e32 v8, v5
	v_lshl_add_u32 v7, v5, 3, v2
	v_lshl_add_u32 v8, v8, 3, v4
	ds_load_b32 v9, v7
	ds_load_b32 v11, v8
	s_wait_dscnt 0x0
	v_cmpx_nlt_f32_e32 v11, v9
	s_cbranch_execz .LBB3_81
; %bb.83:                               ;   in Loop: Header=BB3_82 Depth=1
	s_mov_b32 s8, 0
	s_mov_b32 s9, exec_lo
	v_cmpx_eq_f32_e32 v11, v9
	s_cbranch_execz .LBB3_80
; %bb.84:                               ;   in Loop: Header=BB3_82 Depth=1
	ds_load_b32 v8, v8 offset:4
	ds_load_b32 v7, v7 offset:4
	s_wait_dscnt 0x0
	v_cmp_lt_f32_e64 s3, v8, v7
	s_and_b32 s8, s3, exec_lo
	s_branch .LBB3_80
.LBB3_85:
	s_or_b32 exec_lo, exec_lo, s5
.LBB3_86:
	s_delay_alu instid0(SALU_CYCLE_1) | instskip(SKIP_2) | instid1(VALU_DEP_2)
	s_or_b32 exec_lo, exec_lo, s4
	v_add_nc_u32_e32 v3, v22, v10
	v_lshl_add_u32 v8, v6, 3, v2
	v_sub_nc_u32_e32 v10, v3, v6
	s_delay_alu instid0(VALU_DEP_1) | instskip(SKIP_4) | instid1(SALU_CYCLE_1)
	v_lshl_add_u32 v11, v10, 3, v20
	v_cmp_le_i32_e64 s3, v23, v10
	ds_load_b64 v[2:3], v8
	ds_load_b64 v[4:5], v11
	s_and_saveexec_b32 s4, s3
	s_xor_b32 s3, exec_lo, s4
	s_delay_alu instid0(SALU_CYCLE_1)
	s_or_saveexec_b32 s6, s3
	v_add_nc_u32_e32 v12, v6, v24
	s_mov_b32 s5, 0
	s_xor_b32 exec_lo, exec_lo, s6
	s_cbranch_execz .LBB3_92
; %bb.87:
	s_delay_alu instid0(VALU_DEP_1)
	v_cmp_gt_i32_e64 s3, v22, v12
	s_wait_dscnt 0x0
	v_cmp_nlt_f32_e64 s4, v4, v2
	s_and_b32 s5, s3, s4
	s_mov_b32 s3, -1
	s_and_saveexec_b32 s4, s5
	s_cbranch_execz .LBB3_91
; %bb.88:
	s_mov_b32 s5, 0
	s_mov_b32 s7, exec_lo
	v_cmpx_eq_f32_e32 v4, v2
; %bb.89:
	v_cmp_lt_f32_e64 s3, v5, v3
	s_and_b32 s5, s3, exec_lo
; %bb.90:
	s_or_b32 exec_lo, exec_lo, s7
	s_delay_alu instid0(SALU_CYCLE_1)
	s_or_not1_b32 s3, s5, exec_lo
.LBB3_91:
	s_or_b32 exec_lo, exec_lo, s4
	s_delay_alu instid0(SALU_CYCLE_1)
	s_and_b32 s5, s3, exec_lo
.LBB3_92:
	s_or_b32 exec_lo, exec_lo, s6
	s_xor_b32 s3, s5, -1
                                        ; implicit-def: $vgpr6_vgpr7
	s_delay_alu instid0(SALU_CYCLE_1) | instskip(NEXT) | instid1(SALU_CYCLE_1)
	s_and_saveexec_b32 s4, s3
	s_xor_b32 s3, exec_lo, s4
; %bb.93:
	ds_load_b64 v[6:7], v8 offset:8
                                        ; implicit-def: $vgpr11
; %bb.94:
	s_or_saveexec_b32 s3, s3
	s_wait_dscnt 0x0
	v_mov_b64_e32 v[8:9], v[4:5]
	s_xor_b32 exec_lo, exec_lo, s3
; %bb.95:
	ds_load_b64 v[8:9], v11 offset:8
	v_mov_b64_e32 v[6:7], v[2:3]
; %bb.96:
	s_or_b32 exec_lo, exec_lo, s3
	v_dual_add_nc_u32 v11, 1, v10 :: v_dual_add_nc_u32 v13, 1, v12
	s_mov_b32 s6, 0
	s_mov_b32 s7, exec_lo
	s_delay_alu instid0(VALU_DEP_1) | instskip(NEXT) | instid1(VALU_DEP_1)
	v_dual_cndmask_b32 v15, v10, v11, s5 :: v_dual_cndmask_b32 v14, v13, v12, s5
	v_cmpx_lt_i32_e64 v15, v23
	s_cbranch_execz .LBB3_102
; %bb.97:
	s_delay_alu instid0(VALU_DEP_2)
	v_cmp_lt_i32_e64 s3, v14, v22
	s_wait_dscnt 0x0
	v_cmp_nlt_f32_e64 s4, v8, v6
	s_and_b32 s6, s3, s4
	s_mov_b32 s3, -1
	s_and_saveexec_b32 s4, s6
	s_cbranch_execz .LBB3_101
; %bb.98:
	s_mov_b32 s6, 0
	s_mov_b32 s8, exec_lo
	v_cmpx_eq_f32_e32 v8, v6
; %bb.99:
	v_cmp_lt_f32_e64 s3, v9, v7
	s_and_b32 s6, s3, exec_lo
; %bb.100:
	s_or_b32 exec_lo, exec_lo, s8
	s_delay_alu instid0(SALU_CYCLE_1)
	s_or_not1_b32 s3, s6, exec_lo
.LBB3_101:
	s_or_b32 exec_lo, exec_lo, s4
	s_delay_alu instid0(SALU_CYCLE_1)
	s_and_b32 s6, s3, exec_lo
.LBB3_102:
	s_or_b32 exec_lo, exec_lo, s7
	s_xor_b32 s3, s6, -1
                                        ; implicit-def: $vgpr10_vgpr11
	s_delay_alu instid0(SALU_CYCLE_1) | instskip(NEXT) | instid1(SALU_CYCLE_1)
	s_and_saveexec_b32 s4, s3
	s_xor_b32 s3, exec_lo, s4
; %bb.103:
	v_lshl_add_u32 v10, v14, 3, v20
	ds_load_b64 v[10:11], v10 offset:8
; %bb.104:
	s_or_saveexec_b32 s3, s3
	s_wait_dscnt 0x0
	v_mov_b64_e32 v[12:13], v[8:9]
	s_xor_b32 exec_lo, exec_lo, s3
; %bb.105:
	v_lshl_add_u32 v10, v15, 3, v20
	ds_load_b64 v[12:13], v10 offset:8
	v_mov_b64_e32 v[10:11], v[6:7]
; %bb.106:
	s_or_b32 exec_lo, exec_lo, s3
	v_add_nc_u32_e32 v16, 1, v15
	s_delay_alu instid0(VALU_DEP_1) | instskip(NEXT) | instid1(VALU_DEP_1)
	v_dual_cndmask_b32 v24, v15, v16, s6 :: v_dual_add_nc_u32 v15, 1, v14
	v_cmp_ge_i32_e64 s3, v24, v23
	s_and_saveexec_b32 s4, s3
	s_delay_alu instid0(SALU_CYCLE_1) | instskip(NEXT) | instid1(SALU_CYCLE_1)
	s_xor_b32 s3, exec_lo, s4
	s_or_saveexec_b32 s8, s3
	v_cndmask_b32_e64 v25, v15, v14, s6
	s_mov_b32 s7, 0
	s_xor_b32 exec_lo, exec_lo, s8
	s_cbranch_execz .LBB3_112
; %bb.107:
	s_delay_alu instid0(VALU_DEP_1)
	v_cmp_lt_i32_e64 s3, v25, v22
	s_wait_dscnt 0x0
	v_cmp_nlt_f32_e64 s4, v12, v10
	s_and_b32 s7, s3, s4
	s_mov_b32 s3, -1
	s_and_saveexec_b32 s4, s7
	s_cbranch_execz .LBB3_111
; %bb.108:
	s_mov_b32 s7, 0
	s_mov_b32 s9, exec_lo
	v_cmpx_eq_f32_e32 v12, v10
; %bb.109:
	v_cmp_lt_f32_e64 s3, v13, v11
	s_and_b32 s7, s3, exec_lo
; %bb.110:
	s_or_b32 exec_lo, exec_lo, s9
	s_delay_alu instid0(SALU_CYCLE_1)
	s_or_not1_b32 s3, s7, exec_lo
.LBB3_111:
	s_or_b32 exec_lo, exec_lo, s4
	s_delay_alu instid0(SALU_CYCLE_1)
	s_and_b32 s7, s3, exec_lo
.LBB3_112:
	s_or_b32 exec_lo, exec_lo, s8
	s_xor_b32 s3, s7, -1
                                        ; implicit-def: $vgpr14_vgpr15
	s_delay_alu instid0(SALU_CYCLE_1) | instskip(NEXT) | instid1(SALU_CYCLE_1)
	s_and_saveexec_b32 s4, s3
	s_xor_b32 s3, exec_lo, s4
; %bb.113:
	v_lshl_add_u32 v14, v25, 3, v20
	ds_load_b64 v[14:15], v14 offset:8
; %bb.114:
	s_or_saveexec_b32 s3, s3
	s_wait_dscnt 0x0
	v_mov_b64_e32 v[16:17], v[12:13]
	s_xor_b32 exec_lo, exec_lo, s3
; %bb.115:
	v_lshl_add_u32 v14, v24, 3, v20
	ds_load_b64 v[16:17], v14 offset:8
	v_mov_b64_e32 v[14:15], v[10:11]
; %bb.116:
	s_or_b32 exec_lo, exec_lo, s3
	v_add_nc_u32_e32 v26, 1, v24
	s_mov_b32 s4, 0
	s_mov_b32 s8, exec_lo
	s_delay_alu instid0(VALU_DEP_1) | instskip(NEXT) | instid1(VALU_DEP_1)
	v_cndmask_b32_e64 v24, v24, v26, s7
	v_cmpx_lt_i32_e64 v24, v23
	s_cbranch_execz .LBB3_122
; %bb.117:
	v_add_nc_u32_e32 v23, 1, v25
	s_wait_dscnt 0x0
	v_cmp_nlt_f32_e64 s3, v16, v14
	s_delay_alu instid0(VALU_DEP_2) | instskip(NEXT) | instid1(VALU_DEP_1)
	v_cndmask_b32_e64 v23, v23, v25, s7
	v_cmp_lt_i32_e64 s4, v23, v22
	s_and_b32 s9, s4, s3
	s_mov_b32 s3, -1
	s_and_saveexec_b32 s4, s9
	s_cbranch_execz .LBB3_121
; %bb.118:
	s_mov_b32 s9, 0
	s_mov_b32 s10, exec_lo
	v_cmpx_eq_f32_e32 v16, v14
; %bb.119:
	v_cmp_lt_f32_e64 s3, v17, v15
	s_and_b32 s9, s3, exec_lo
; %bb.120:
	s_or_b32 exec_lo, exec_lo, s10
	s_delay_alu instid0(SALU_CYCLE_1)
	s_or_not1_b32 s3, s9, exec_lo
.LBB3_121:
	s_or_b32 exec_lo, exec_lo, s4
	s_delay_alu instid0(SALU_CYCLE_1)
	s_and_b32 s4, s3, exec_lo
.LBB3_122:
	s_or_b32 exec_lo, exec_lo, s8
	v_and_b32_e32 v22, 0x60, v19
	v_dual_cndmask_b32 v12, v10, v12, s7 :: v_dual_bitop2_b32 v25, 28, v19 bitop3:0x40
	v_dual_cndmask_b32 v9, v7, v9, s6 :: v_dual_cndmask_b32 v4, v2, v4, s5
	s_delay_alu instid0(VALU_DEP_3) | instskip(NEXT) | instid1(VALU_DEP_3)
	v_min_i32_e32 v24, v18, v22
	v_min_i32_e32 v10, v18, v25
	v_dual_cndmask_b32 v13, v11, v13, s7 :: v_dual_cndmask_b32 v8, v6, v8, s6
	s_wait_dscnt 0x0
	v_dual_cndmask_b32 v15, v15, v17, s4 :: v_dual_cndmask_b32 v14, v14, v16, s4
	v_add_min_i32_e64 v22, v24, 16, v18
	s_mov_b32 s4, exec_lo
	; wave barrier
	v_cndmask_b32_e64 v5, v3, v5, s5
	s_delay_alu instid0(VALU_DEP_2) | instskip(SKIP_3) | instid1(VALU_DEP_1)
	v_add_min_i32_e64 v23, v22, 16, v18
	ds_store_2addr_b64 v21, v[4:5], v[8:9] offset1:1
	ds_store_2addr_b64 v21, v[12:13], v[14:15] offset0:2 offset1:3
	v_dual_sub_nc_u32 v25, v23, v22 :: v_dual_sub_nc_u32 v7, v22, v24
	; wave barrier
	v_sub_nc_u32_e32 v2, v10, v25
	v_cmp_ge_i32_e64 s3, v10, v25
	s_delay_alu instid0(VALU_DEP_1) | instskip(SKIP_1) | instid1(VALU_DEP_2)
	v_dual_cndmask_b32 v6, 0, v2, s3 :: v_dual_min_i32 v3, v10, v7
	v_lshl_add_u32 v2, v24, 3, v20
	v_cmpx_lt_i32_e64 v6, v3
	s_cbranch_execz .LBB3_130
; %bb.123:
	v_lshlrev_b32_e32 v4, 3, v22
	v_lshlrev_b32_e32 v5, 3, v10
	s_mov_b32 s5, 0
                                        ; implicit-def: $sgpr6
	s_delay_alu instid0(VALU_DEP_1)
	v_add3_u32 v4, v20, v4, v5
	s_branch .LBB3_126
.LBB3_124:                              ;   in Loop: Header=BB3_126 Depth=1
	s_or_b32 exec_lo, exec_lo, s9
	s_delay_alu instid0(SALU_CYCLE_1) | instskip(SKIP_1) | instid1(SALU_CYCLE_1)
	s_and_not1_b32 s3, s6, exec_lo
	s_and_b32 s6, s8, exec_lo
	s_or_b32 s6, s3, s6
.LBB3_125:                              ;   in Loop: Header=BB3_126 Depth=1
	s_or_b32 exec_lo, exec_lo, s7
	v_dual_add_nc_u32 v7, 1, v5 :: v_dual_cndmask_b32 v3, v3, v5, s6
	s_delay_alu instid0(VALU_DEP_1) | instskip(NEXT) | instid1(VALU_DEP_1)
	v_cndmask_b32_e64 v6, v7, v6, s6
	v_cmp_ge_i32_e64 s3, v6, v3
	s_or_b32 s5, s3, s5
	s_delay_alu instid0(SALU_CYCLE_1)
	s_and_not1_b32 exec_lo, exec_lo, s5
	s_cbranch_execz .LBB3_129
.LBB3_126:                              ; =>This Inner Loop Header: Depth=1
	v_sub_nc_u32_e32 v5, v3, v6
	s_or_b32 s6, s6, exec_lo
	s_mov_b32 s7, exec_lo
	s_delay_alu instid0(VALU_DEP_1) | instskip(NEXT) | instid1(VALU_DEP_1)
	v_lshrrev_b32_e32 v5, 1, v5
	v_add_nc_u32_e32 v5, v5, v6
	s_delay_alu instid0(VALU_DEP_1) | instskip(SKIP_1) | instid1(VALU_DEP_2)
	v_not_b32_e32 v8, v5
	v_lshl_add_u32 v7, v5, 3, v2
	v_lshl_add_u32 v8, v8, 3, v4
	ds_load_b32 v9, v7
	ds_load_b32 v11, v8
	s_wait_dscnt 0x0
	v_cmpx_nlt_f32_e32 v11, v9
	s_cbranch_execz .LBB3_125
; %bb.127:                              ;   in Loop: Header=BB3_126 Depth=1
	s_mov_b32 s8, 0
	s_mov_b32 s9, exec_lo
	v_cmpx_eq_f32_e32 v11, v9
	s_cbranch_execz .LBB3_124
; %bb.128:                              ;   in Loop: Header=BB3_126 Depth=1
	ds_load_b32 v8, v8 offset:4
	ds_load_b32 v7, v7 offset:4
	s_wait_dscnt 0x0
	v_cmp_lt_f32_e64 s3, v8, v7
	s_and_b32 s8, s3, exec_lo
	s_branch .LBB3_124
.LBB3_129:
	s_or_b32 exec_lo, exec_lo, s5
.LBB3_130:
	s_delay_alu instid0(SALU_CYCLE_1) | instskip(SKIP_2) | instid1(VALU_DEP_2)
	s_or_b32 exec_lo, exec_lo, s4
	v_add_nc_u32_e32 v3, v22, v10
	v_lshl_add_u32 v8, v6, 3, v2
	v_sub_nc_u32_e32 v10, v3, v6
	s_delay_alu instid0(VALU_DEP_1) | instskip(SKIP_4) | instid1(SALU_CYCLE_1)
	v_lshl_add_u32 v11, v10, 3, v20
	v_cmp_le_i32_e64 s3, v23, v10
	ds_load_b64 v[2:3], v8
	ds_load_b64 v[4:5], v11
	s_and_saveexec_b32 s4, s3
	s_xor_b32 s3, exec_lo, s4
	s_delay_alu instid0(SALU_CYCLE_1)
	s_or_saveexec_b32 s6, s3
	v_add_nc_u32_e32 v12, v6, v24
	s_mov_b32 s5, 0
	s_xor_b32 exec_lo, exec_lo, s6
	s_cbranch_execz .LBB3_136
; %bb.131:
	s_delay_alu instid0(VALU_DEP_1)
	v_cmp_gt_i32_e64 s3, v22, v12
	s_wait_dscnt 0x0
	v_cmp_nlt_f32_e64 s4, v4, v2
	s_and_b32 s5, s3, s4
	s_mov_b32 s3, -1
	s_and_saveexec_b32 s4, s5
	s_cbranch_execz .LBB3_135
; %bb.132:
	s_mov_b32 s5, 0
	s_mov_b32 s7, exec_lo
	v_cmpx_eq_f32_e32 v4, v2
; %bb.133:
	v_cmp_lt_f32_e64 s3, v5, v3
	s_and_b32 s5, s3, exec_lo
; %bb.134:
	s_or_b32 exec_lo, exec_lo, s7
	s_delay_alu instid0(SALU_CYCLE_1)
	s_or_not1_b32 s3, s5, exec_lo
.LBB3_135:
	s_or_b32 exec_lo, exec_lo, s4
	s_delay_alu instid0(SALU_CYCLE_1)
	s_and_b32 s5, s3, exec_lo
.LBB3_136:
	s_or_b32 exec_lo, exec_lo, s6
	s_xor_b32 s3, s5, -1
                                        ; implicit-def: $vgpr6_vgpr7
	s_delay_alu instid0(SALU_CYCLE_1) | instskip(NEXT) | instid1(SALU_CYCLE_1)
	s_and_saveexec_b32 s4, s3
	s_xor_b32 s3, exec_lo, s4
; %bb.137:
	ds_load_b64 v[6:7], v8 offset:8
                                        ; implicit-def: $vgpr11
; %bb.138:
	s_or_saveexec_b32 s3, s3
	s_wait_dscnt 0x0
	v_mov_b64_e32 v[8:9], v[4:5]
	s_xor_b32 exec_lo, exec_lo, s3
; %bb.139:
	ds_load_b64 v[8:9], v11 offset:8
	v_mov_b64_e32 v[6:7], v[2:3]
; %bb.140:
	s_or_b32 exec_lo, exec_lo, s3
	v_dual_add_nc_u32 v11, 1, v10 :: v_dual_add_nc_u32 v13, 1, v12
	s_mov_b32 s6, 0
	s_mov_b32 s7, exec_lo
	s_delay_alu instid0(VALU_DEP_1) | instskip(NEXT) | instid1(VALU_DEP_1)
	v_dual_cndmask_b32 v15, v10, v11, s5 :: v_dual_cndmask_b32 v14, v13, v12, s5
	v_cmpx_lt_i32_e64 v15, v23
	s_cbranch_execz .LBB3_146
; %bb.141:
	s_delay_alu instid0(VALU_DEP_2)
	v_cmp_lt_i32_e64 s3, v14, v22
	s_wait_dscnt 0x0
	v_cmp_nlt_f32_e64 s4, v8, v6
	s_and_b32 s6, s3, s4
	s_mov_b32 s3, -1
	s_and_saveexec_b32 s4, s6
	s_cbranch_execz .LBB3_145
; %bb.142:
	s_mov_b32 s6, 0
	s_mov_b32 s8, exec_lo
	v_cmpx_eq_f32_e32 v8, v6
; %bb.143:
	v_cmp_lt_f32_e64 s3, v9, v7
	s_and_b32 s6, s3, exec_lo
; %bb.144:
	s_or_b32 exec_lo, exec_lo, s8
	s_delay_alu instid0(SALU_CYCLE_1)
	s_or_not1_b32 s3, s6, exec_lo
.LBB3_145:
	s_or_b32 exec_lo, exec_lo, s4
	s_delay_alu instid0(SALU_CYCLE_1)
	s_and_b32 s6, s3, exec_lo
.LBB3_146:
	s_or_b32 exec_lo, exec_lo, s7
	s_xor_b32 s3, s6, -1
                                        ; implicit-def: $vgpr10_vgpr11
	s_delay_alu instid0(SALU_CYCLE_1) | instskip(NEXT) | instid1(SALU_CYCLE_1)
	s_and_saveexec_b32 s4, s3
	s_xor_b32 s3, exec_lo, s4
; %bb.147:
	v_lshl_add_u32 v10, v14, 3, v20
	ds_load_b64 v[10:11], v10 offset:8
; %bb.148:
	s_or_saveexec_b32 s3, s3
	s_wait_dscnt 0x0
	v_mov_b64_e32 v[12:13], v[8:9]
	s_xor_b32 exec_lo, exec_lo, s3
; %bb.149:
	v_lshl_add_u32 v10, v15, 3, v20
	ds_load_b64 v[12:13], v10 offset:8
	v_mov_b64_e32 v[10:11], v[6:7]
; %bb.150:
	s_or_b32 exec_lo, exec_lo, s3
	v_add_nc_u32_e32 v16, 1, v15
	s_delay_alu instid0(VALU_DEP_1) | instskip(NEXT) | instid1(VALU_DEP_1)
	v_dual_cndmask_b32 v24, v15, v16, s6 :: v_dual_add_nc_u32 v15, 1, v14
	v_cmp_ge_i32_e64 s3, v24, v23
	s_and_saveexec_b32 s4, s3
	s_delay_alu instid0(SALU_CYCLE_1) | instskip(NEXT) | instid1(SALU_CYCLE_1)
	s_xor_b32 s3, exec_lo, s4
	s_or_saveexec_b32 s8, s3
	v_cndmask_b32_e64 v25, v15, v14, s6
	s_mov_b32 s7, 0
	s_xor_b32 exec_lo, exec_lo, s8
	s_cbranch_execz .LBB3_156
; %bb.151:
	s_delay_alu instid0(VALU_DEP_1)
	v_cmp_lt_i32_e64 s3, v25, v22
	s_wait_dscnt 0x0
	v_cmp_nlt_f32_e64 s4, v12, v10
	s_and_b32 s7, s3, s4
	s_mov_b32 s3, -1
	s_and_saveexec_b32 s4, s7
	s_cbranch_execz .LBB3_155
; %bb.152:
	s_mov_b32 s7, 0
	s_mov_b32 s9, exec_lo
	v_cmpx_eq_f32_e32 v12, v10
; %bb.153:
	v_cmp_lt_f32_e64 s3, v13, v11
	s_and_b32 s7, s3, exec_lo
; %bb.154:
	s_or_b32 exec_lo, exec_lo, s9
	s_delay_alu instid0(SALU_CYCLE_1)
	s_or_not1_b32 s3, s7, exec_lo
.LBB3_155:
	s_or_b32 exec_lo, exec_lo, s4
	s_delay_alu instid0(SALU_CYCLE_1)
	s_and_b32 s7, s3, exec_lo
.LBB3_156:
	s_or_b32 exec_lo, exec_lo, s8
	s_xor_b32 s3, s7, -1
                                        ; implicit-def: $vgpr14_vgpr15
	s_delay_alu instid0(SALU_CYCLE_1) | instskip(NEXT) | instid1(SALU_CYCLE_1)
	s_and_saveexec_b32 s4, s3
	s_xor_b32 s3, exec_lo, s4
; %bb.157:
	v_lshl_add_u32 v14, v25, 3, v20
	ds_load_b64 v[14:15], v14 offset:8
; %bb.158:
	s_or_saveexec_b32 s3, s3
	s_wait_dscnt 0x0
	v_mov_b64_e32 v[16:17], v[12:13]
	s_xor_b32 exec_lo, exec_lo, s3
; %bb.159:
	v_lshl_add_u32 v14, v24, 3, v20
	ds_load_b64 v[16:17], v14 offset:8
	v_mov_b64_e32 v[14:15], v[10:11]
; %bb.160:
	s_or_b32 exec_lo, exec_lo, s3
	v_add_nc_u32_e32 v26, 1, v24
	s_mov_b32 s4, 0
	s_mov_b32 s8, exec_lo
	s_delay_alu instid0(VALU_DEP_1) | instskip(NEXT) | instid1(VALU_DEP_1)
	v_cndmask_b32_e64 v24, v24, v26, s7
	v_cmpx_lt_i32_e64 v24, v23
	s_cbranch_execz .LBB3_166
; %bb.161:
	v_add_nc_u32_e32 v23, 1, v25
	s_wait_dscnt 0x0
	v_cmp_nlt_f32_e64 s3, v16, v14
	s_delay_alu instid0(VALU_DEP_2) | instskip(NEXT) | instid1(VALU_DEP_1)
	v_cndmask_b32_e64 v23, v23, v25, s7
	v_cmp_lt_i32_e64 s4, v23, v22
	s_and_b32 s9, s4, s3
	s_mov_b32 s3, -1
	s_and_saveexec_b32 s4, s9
	s_cbranch_execz .LBB3_165
; %bb.162:
	s_mov_b32 s9, 0
	s_mov_b32 s10, exec_lo
	v_cmpx_eq_f32_e32 v16, v14
; %bb.163:
	v_cmp_lt_f32_e64 s3, v17, v15
	s_and_b32 s9, s3, exec_lo
; %bb.164:
	s_or_b32 exec_lo, exec_lo, s10
	s_delay_alu instid0(SALU_CYCLE_1)
	s_or_not1_b32 s3, s9, exec_lo
.LBB3_165:
	s_or_b32 exec_lo, exec_lo, s4
	s_delay_alu instid0(SALU_CYCLE_1)
	s_and_b32 s4, s3, exec_lo
.LBB3_166:
	s_or_b32 exec_lo, exec_lo, s8
	v_dual_cndmask_b32 v12, v10, v12, s7 :: v_dual_bitop2_b32 v22, 64, v19 bitop3:0x40
	v_dual_cndmask_b32 v13, v11, v13, s7 :: v_dual_bitop2_b32 v25, 60, v19 bitop3:0x40
	v_dual_cndmask_b32 v9, v7, v9, s6 :: v_dual_cndmask_b32 v8, v6, v8, s6
	s_delay_alu instid0(VALU_DEP_3) | instskip(NEXT) | instid1(VALU_DEP_3)
	v_min_i32_e32 v24, v18, v22
	v_min_i32_e32 v10, v18, v25
	v_dual_cndmask_b32 v4, v2, v4, s5 :: v_dual_cndmask_b32 v5, v3, v5, s5
	s_wait_dscnt 0x0
	v_cndmask_b32_e64 v14, v14, v16, s4
	v_add_min_i32_e64 v22, v24, 32, v18
	; wave barrier
	v_cndmask_b32_e64 v15, v15, v17, s4
	s_mov_b32 s4, exec_lo
	s_delay_alu instid0(VALU_DEP_2) | instskip(SKIP_3) | instid1(VALU_DEP_1)
	v_add_min_i32_e64 v23, v22, 32, v18
	ds_store_2addr_b64 v21, v[4:5], v[8:9] offset1:1
	ds_store_2addr_b64 v21, v[12:13], v[14:15] offset0:2 offset1:3
	; wave barrier
	v_dual_sub_nc_u32 v25, v23, v22 :: v_dual_sub_nc_u32 v7, v22, v24
	v_sub_nc_u32_e32 v2, v10, v25
	v_cmp_ge_i32_e64 s3, v10, v25
	s_delay_alu instid0(VALU_DEP_1) | instskip(SKIP_1) | instid1(VALU_DEP_2)
	v_dual_cndmask_b32 v6, 0, v2, s3 :: v_dual_min_i32 v3, v10, v7
	v_lshl_add_u32 v2, v24, 3, v20
	v_cmpx_lt_i32_e64 v6, v3
	s_cbranch_execz .LBB3_174
; %bb.167:
	v_lshlrev_b32_e32 v4, 3, v22
	v_lshlrev_b32_e32 v5, 3, v10
	s_mov_b32 s5, 0
                                        ; implicit-def: $sgpr6
	s_delay_alu instid0(VALU_DEP_1)
	v_add3_u32 v4, v20, v4, v5
	s_branch .LBB3_170
.LBB3_168:                              ;   in Loop: Header=BB3_170 Depth=1
	s_or_b32 exec_lo, exec_lo, s9
	s_delay_alu instid0(SALU_CYCLE_1) | instskip(SKIP_1) | instid1(SALU_CYCLE_1)
	s_and_not1_b32 s3, s6, exec_lo
	s_and_b32 s6, s8, exec_lo
	s_or_b32 s6, s3, s6
.LBB3_169:                              ;   in Loop: Header=BB3_170 Depth=1
	s_or_b32 exec_lo, exec_lo, s7
	v_dual_add_nc_u32 v7, 1, v5 :: v_dual_cndmask_b32 v3, v3, v5, s6
	s_delay_alu instid0(VALU_DEP_1) | instskip(NEXT) | instid1(VALU_DEP_1)
	v_cndmask_b32_e64 v6, v7, v6, s6
	v_cmp_ge_i32_e64 s3, v6, v3
	s_or_b32 s5, s3, s5
	s_delay_alu instid0(SALU_CYCLE_1)
	s_and_not1_b32 exec_lo, exec_lo, s5
	s_cbranch_execz .LBB3_173
.LBB3_170:                              ; =>This Inner Loop Header: Depth=1
	v_sub_nc_u32_e32 v5, v3, v6
	s_or_b32 s6, s6, exec_lo
	s_mov_b32 s7, exec_lo
	s_delay_alu instid0(VALU_DEP_1) | instskip(NEXT) | instid1(VALU_DEP_1)
	v_lshrrev_b32_e32 v5, 1, v5
	v_add_nc_u32_e32 v5, v5, v6
	s_delay_alu instid0(VALU_DEP_1) | instskip(SKIP_1) | instid1(VALU_DEP_2)
	v_not_b32_e32 v8, v5
	v_lshl_add_u32 v7, v5, 3, v2
	v_lshl_add_u32 v8, v8, 3, v4
	ds_load_b32 v9, v7
	ds_load_b32 v11, v8
	s_wait_dscnt 0x0
	v_cmpx_nlt_f32_e32 v11, v9
	s_cbranch_execz .LBB3_169
; %bb.171:                              ;   in Loop: Header=BB3_170 Depth=1
	s_mov_b32 s8, 0
	s_mov_b32 s9, exec_lo
	v_cmpx_eq_f32_e32 v11, v9
	s_cbranch_execz .LBB3_168
; %bb.172:                              ;   in Loop: Header=BB3_170 Depth=1
	ds_load_b32 v8, v8 offset:4
	ds_load_b32 v7, v7 offset:4
	s_wait_dscnt 0x0
	v_cmp_lt_f32_e64 s3, v8, v7
	s_and_b32 s8, s3, exec_lo
	s_branch .LBB3_168
.LBB3_173:
	s_or_b32 exec_lo, exec_lo, s5
.LBB3_174:
	s_delay_alu instid0(SALU_CYCLE_1) | instskip(SKIP_2) | instid1(VALU_DEP_2)
	s_or_b32 exec_lo, exec_lo, s4
	v_add_nc_u32_e32 v3, v22, v10
	v_lshl_add_u32 v8, v6, 3, v2
	v_sub_nc_u32_e32 v10, v3, v6
	s_delay_alu instid0(VALU_DEP_1) | instskip(SKIP_4) | instid1(SALU_CYCLE_1)
	v_lshl_add_u32 v11, v10, 3, v20
	v_cmp_le_i32_e64 s3, v23, v10
	ds_load_b64 v[2:3], v8
	ds_load_b64 v[4:5], v11
	s_and_saveexec_b32 s4, s3
	s_xor_b32 s3, exec_lo, s4
	s_delay_alu instid0(SALU_CYCLE_1)
	s_or_saveexec_b32 s6, s3
	v_add_nc_u32_e32 v12, v6, v24
	s_mov_b32 s5, 0
	s_xor_b32 exec_lo, exec_lo, s6
	s_cbranch_execz .LBB3_180
; %bb.175:
	s_delay_alu instid0(VALU_DEP_1)
	v_cmp_gt_i32_e64 s3, v22, v12
	s_wait_dscnt 0x0
	v_cmp_nlt_f32_e64 s4, v4, v2
	s_and_b32 s5, s3, s4
	s_mov_b32 s3, -1
	s_and_saveexec_b32 s4, s5
	s_cbranch_execz .LBB3_179
; %bb.176:
	s_mov_b32 s5, 0
	s_mov_b32 s7, exec_lo
	v_cmpx_eq_f32_e32 v4, v2
; %bb.177:
	v_cmp_lt_f32_e64 s3, v5, v3
	s_and_b32 s5, s3, exec_lo
; %bb.178:
	s_or_b32 exec_lo, exec_lo, s7
	s_delay_alu instid0(SALU_CYCLE_1)
	s_or_not1_b32 s3, s5, exec_lo
.LBB3_179:
	s_or_b32 exec_lo, exec_lo, s4
	s_delay_alu instid0(SALU_CYCLE_1)
	s_and_b32 s5, s3, exec_lo
.LBB3_180:
	s_or_b32 exec_lo, exec_lo, s6
	s_xor_b32 s3, s5, -1
                                        ; implicit-def: $vgpr6_vgpr7
	s_delay_alu instid0(SALU_CYCLE_1) | instskip(NEXT) | instid1(SALU_CYCLE_1)
	s_and_saveexec_b32 s4, s3
	s_xor_b32 s3, exec_lo, s4
; %bb.181:
	ds_load_b64 v[6:7], v8 offset:8
                                        ; implicit-def: $vgpr11
; %bb.182:
	s_or_saveexec_b32 s3, s3
	s_wait_dscnt 0x0
	v_mov_b64_e32 v[8:9], v[4:5]
	s_xor_b32 exec_lo, exec_lo, s3
; %bb.183:
	ds_load_b64 v[8:9], v11 offset:8
	v_mov_b64_e32 v[6:7], v[2:3]
; %bb.184:
	s_or_b32 exec_lo, exec_lo, s3
	v_dual_add_nc_u32 v11, 1, v10 :: v_dual_add_nc_u32 v13, 1, v12
	s_mov_b32 s6, 0
	s_mov_b32 s7, exec_lo
	s_delay_alu instid0(VALU_DEP_1) | instskip(NEXT) | instid1(VALU_DEP_1)
	v_dual_cndmask_b32 v15, v10, v11, s5 :: v_dual_cndmask_b32 v14, v13, v12, s5
	v_cmpx_lt_i32_e64 v15, v23
	s_cbranch_execz .LBB3_190
; %bb.185:
	s_delay_alu instid0(VALU_DEP_2)
	v_cmp_lt_i32_e64 s3, v14, v22
	s_wait_dscnt 0x0
	v_cmp_nlt_f32_e64 s4, v8, v6
	s_and_b32 s6, s3, s4
	s_mov_b32 s3, -1
	s_and_saveexec_b32 s4, s6
	s_cbranch_execz .LBB3_189
; %bb.186:
	s_mov_b32 s6, 0
	s_mov_b32 s8, exec_lo
	v_cmpx_eq_f32_e32 v8, v6
; %bb.187:
	v_cmp_lt_f32_e64 s3, v9, v7
	s_and_b32 s6, s3, exec_lo
; %bb.188:
	s_or_b32 exec_lo, exec_lo, s8
	s_delay_alu instid0(SALU_CYCLE_1)
	s_or_not1_b32 s3, s6, exec_lo
.LBB3_189:
	s_or_b32 exec_lo, exec_lo, s4
	s_delay_alu instid0(SALU_CYCLE_1)
	s_and_b32 s6, s3, exec_lo
.LBB3_190:
	s_or_b32 exec_lo, exec_lo, s7
	s_xor_b32 s3, s6, -1
                                        ; implicit-def: $vgpr10_vgpr11
	s_delay_alu instid0(SALU_CYCLE_1) | instskip(NEXT) | instid1(SALU_CYCLE_1)
	s_and_saveexec_b32 s4, s3
	s_xor_b32 s3, exec_lo, s4
; %bb.191:
	v_lshl_add_u32 v10, v14, 3, v20
	ds_load_b64 v[10:11], v10 offset:8
; %bb.192:
	s_or_saveexec_b32 s3, s3
	s_wait_dscnt 0x0
	v_mov_b64_e32 v[12:13], v[8:9]
	s_xor_b32 exec_lo, exec_lo, s3
; %bb.193:
	v_lshl_add_u32 v10, v15, 3, v20
	ds_load_b64 v[12:13], v10 offset:8
	v_mov_b64_e32 v[10:11], v[6:7]
; %bb.194:
	s_or_b32 exec_lo, exec_lo, s3
	v_add_nc_u32_e32 v16, 1, v15
	s_delay_alu instid0(VALU_DEP_1) | instskip(NEXT) | instid1(VALU_DEP_1)
	v_dual_cndmask_b32 v24, v15, v16, s6 :: v_dual_add_nc_u32 v15, 1, v14
	v_cmp_ge_i32_e64 s3, v24, v23
	s_and_saveexec_b32 s4, s3
	s_delay_alu instid0(SALU_CYCLE_1) | instskip(NEXT) | instid1(SALU_CYCLE_1)
	s_xor_b32 s3, exec_lo, s4
	s_or_saveexec_b32 s8, s3
	v_cndmask_b32_e64 v25, v15, v14, s6
	s_mov_b32 s7, 0
	s_xor_b32 exec_lo, exec_lo, s8
	s_cbranch_execz .LBB3_200
; %bb.195:
	s_delay_alu instid0(VALU_DEP_1)
	v_cmp_lt_i32_e64 s3, v25, v22
	s_wait_dscnt 0x0
	v_cmp_nlt_f32_e64 s4, v12, v10
	s_and_b32 s7, s3, s4
	s_mov_b32 s3, -1
	s_and_saveexec_b32 s4, s7
	s_cbranch_execz .LBB3_199
; %bb.196:
	s_mov_b32 s7, 0
	s_mov_b32 s9, exec_lo
	v_cmpx_eq_f32_e32 v12, v10
; %bb.197:
	v_cmp_lt_f32_e64 s3, v13, v11
	s_and_b32 s7, s3, exec_lo
; %bb.198:
	s_or_b32 exec_lo, exec_lo, s9
	s_delay_alu instid0(SALU_CYCLE_1)
	s_or_not1_b32 s3, s7, exec_lo
.LBB3_199:
	s_or_b32 exec_lo, exec_lo, s4
	s_delay_alu instid0(SALU_CYCLE_1)
	s_and_b32 s7, s3, exec_lo
.LBB3_200:
	s_or_b32 exec_lo, exec_lo, s8
	s_xor_b32 s3, s7, -1
                                        ; implicit-def: $vgpr14_vgpr15
	s_delay_alu instid0(SALU_CYCLE_1) | instskip(NEXT) | instid1(SALU_CYCLE_1)
	s_and_saveexec_b32 s4, s3
	s_xor_b32 s3, exec_lo, s4
; %bb.201:
	v_lshl_add_u32 v14, v25, 3, v20
	ds_load_b64 v[14:15], v14 offset:8
; %bb.202:
	s_or_saveexec_b32 s3, s3
	s_wait_dscnt 0x0
	v_mov_b64_e32 v[16:17], v[12:13]
	s_xor_b32 exec_lo, exec_lo, s3
; %bb.203:
	v_lshl_add_u32 v14, v24, 3, v20
	ds_load_b64 v[16:17], v14 offset:8
	v_mov_b64_e32 v[14:15], v[10:11]
; %bb.204:
	s_or_b32 exec_lo, exec_lo, s3
	v_add_nc_u32_e32 v26, 1, v24
	s_mov_b32 s4, 0
	s_mov_b32 s8, exec_lo
	s_delay_alu instid0(VALU_DEP_1) | instskip(NEXT) | instid1(VALU_DEP_1)
	v_cndmask_b32_e64 v24, v24, v26, s7
	v_cmpx_lt_i32_e64 v24, v23
	s_cbranch_execz .LBB3_210
; %bb.205:
	v_add_nc_u32_e32 v23, 1, v25
	s_wait_dscnt 0x0
	v_cmp_nlt_f32_e64 s3, v16, v14
	s_delay_alu instid0(VALU_DEP_2) | instskip(NEXT) | instid1(VALU_DEP_1)
	v_cndmask_b32_e64 v23, v23, v25, s7
	v_cmp_lt_i32_e64 s4, v23, v22
	s_and_b32 s9, s4, s3
	s_mov_b32 s3, -1
	s_and_saveexec_b32 s4, s9
	s_cbranch_execz .LBB3_209
; %bb.206:
	s_mov_b32 s9, 0
	s_mov_b32 s10, exec_lo
	v_cmpx_eq_f32_e32 v16, v14
; %bb.207:
	v_cmp_lt_f32_e64 s3, v17, v15
	s_and_b32 s9, s3, exec_lo
; %bb.208:
	s_or_b32 exec_lo, exec_lo, s10
	s_delay_alu instid0(SALU_CYCLE_1)
	s_or_not1_b32 s3, s9, exec_lo
.LBB3_209:
	s_or_b32 exec_lo, exec_lo, s4
	s_delay_alu instid0(SALU_CYCLE_1)
	s_and_b32 s4, s3, exec_lo
.LBB3_210:
	s_or_b32 exec_lo, exec_lo, s8
	v_dual_cndmask_b32 v12, v10, v12, s7 :: v_dual_min_i32 v24, 0, v18
	v_dual_cndmask_b32 v9, v7, v9, s6 :: v_dual_cndmask_b32 v4, v2, v4, s5
	v_dual_cndmask_b32 v13, v11, v13, s7 :: v_dual_cndmask_b32 v8, v6, v8, s6
	s_delay_alu instid0(VALU_DEP_3) | instskip(SKIP_2) | instid1(VALU_DEP_2)
	v_add_min_i32_e64 v22, v24, 64, v18
	s_wait_dscnt 0x0
	v_cndmask_b32_e64 v14, v14, v16, s4
	; wave barrier
	v_dual_cndmask_b32 v15, v15, v17, s4 :: v_dual_sub_nc_u32 v7, v22, v24
	v_add_min_i32_e64 v23, v22, 64, v18
	v_min_i32_e32 v10, v18, v19
	s_mov_b32 s4, exec_lo
	v_cndmask_b32_e64 v5, v3, v5, s5
	ds_store_2addr_b64 v21, v[4:5], v[8:9] offset1:1
	ds_store_2addr_b64 v21, v[12:13], v[14:15] offset0:2 offset1:3
	v_dual_sub_nc_u32 v18, v23, v22 :: v_dual_min_i32 v3, v10, v7
	; wave barrier
	s_delay_alu instid0(VALU_DEP_1) | instskip(SKIP_1) | instid1(VALU_DEP_1)
	v_sub_nc_u32_e32 v2, v10, v18
	v_cmp_ge_i32_e64 s3, v10, v18
	v_cndmask_b32_e64 v6, 0, v2, s3
	v_lshl_add_u32 v2, v24, 3, v20
	s_delay_alu instid0(VALU_DEP_2)
	v_cmpx_lt_i32_e64 v6, v3
	s_cbranch_execz .LBB3_218
; %bb.211:
	v_lshlrev_b32_e32 v4, 3, v22
	v_lshlrev_b32_e32 v5, 3, v10
	s_mov_b32 s5, 0
                                        ; implicit-def: $sgpr6
	s_delay_alu instid0(VALU_DEP_1)
	v_add3_u32 v4, v20, v4, v5
	s_branch .LBB3_214
.LBB3_212:                              ;   in Loop: Header=BB3_214 Depth=1
	s_or_b32 exec_lo, exec_lo, s9
	s_delay_alu instid0(SALU_CYCLE_1) | instskip(SKIP_1) | instid1(SALU_CYCLE_1)
	s_and_not1_b32 s3, s6, exec_lo
	s_and_b32 s6, s8, exec_lo
	s_or_b32 s6, s3, s6
.LBB3_213:                              ;   in Loop: Header=BB3_214 Depth=1
	s_or_b32 exec_lo, exec_lo, s7
	v_dual_add_nc_u32 v7, 1, v5 :: v_dual_cndmask_b32 v3, v3, v5, s6
	s_delay_alu instid0(VALU_DEP_1) | instskip(NEXT) | instid1(VALU_DEP_1)
	v_cndmask_b32_e64 v6, v7, v6, s6
	v_cmp_ge_i32_e64 s3, v6, v3
	s_or_b32 s5, s3, s5
	s_delay_alu instid0(SALU_CYCLE_1)
	s_and_not1_b32 exec_lo, exec_lo, s5
	s_cbranch_execz .LBB3_217
.LBB3_214:                              ; =>This Inner Loop Header: Depth=1
	v_sub_nc_u32_e32 v5, v3, v6
	s_or_b32 s6, s6, exec_lo
	s_mov_b32 s7, exec_lo
	s_delay_alu instid0(VALU_DEP_1) | instskip(NEXT) | instid1(VALU_DEP_1)
	v_lshrrev_b32_e32 v5, 1, v5
	v_add_nc_u32_e32 v5, v5, v6
	s_delay_alu instid0(VALU_DEP_1) | instskip(SKIP_1) | instid1(VALU_DEP_2)
	v_not_b32_e32 v8, v5
	v_lshl_add_u32 v7, v5, 3, v2
	v_lshl_add_u32 v8, v8, 3, v4
	ds_load_b32 v9, v7
	ds_load_b32 v11, v8
	s_wait_dscnt 0x0
	v_cmpx_nlt_f32_e32 v11, v9
	s_cbranch_execz .LBB3_213
; %bb.215:                              ;   in Loop: Header=BB3_214 Depth=1
	s_mov_b32 s8, 0
	s_mov_b32 s9, exec_lo
	v_cmpx_eq_f32_e32 v11, v9
	s_cbranch_execz .LBB3_212
; %bb.216:                              ;   in Loop: Header=BB3_214 Depth=1
	ds_load_b32 v8, v8 offset:4
	ds_load_b32 v7, v7 offset:4
	s_wait_dscnt 0x0
	v_cmp_lt_f32_e64 s3, v8, v7
	s_and_b32 s8, s3, exec_lo
	s_branch .LBB3_212
.LBB3_217:
	s_or_b32 exec_lo, exec_lo, s5
.LBB3_218:
	s_delay_alu instid0(SALU_CYCLE_1) | instskip(SKIP_2) | instid1(VALU_DEP_2)
	s_or_b32 exec_lo, exec_lo, s4
	v_add_nc_u32_e32 v3, v10, v22
	v_lshl_add_u32 v8, v6, 3, v2
	v_sub_nc_u32_e32 v10, v3, v6
	s_delay_alu instid0(VALU_DEP_1) | instskip(SKIP_4) | instid1(SALU_CYCLE_1)
	v_lshl_add_u32 v12, v10, 3, v20
	v_cmp_le_i32_e64 s3, v23, v10
	ds_load_b64 v[2:3], v8
	ds_load_b64 v[4:5], v12
	s_and_saveexec_b32 s4, s3
	s_xor_b32 s3, exec_lo, s4
	s_delay_alu instid0(SALU_CYCLE_1)
	s_or_saveexec_b32 s6, s3
	v_add_nc_u32_e32 v11, v6, v24
	s_mov_b32 s5, 0
	s_xor_b32 exec_lo, exec_lo, s6
	s_cbranch_execz .LBB3_224
; %bb.219:
	s_delay_alu instid0(VALU_DEP_1)
	v_cmp_gt_i32_e64 s3, v22, v11
	s_wait_dscnt 0x0
	v_cmp_nlt_f32_e64 s4, v4, v2
	s_and_b32 s5, s3, s4
	s_mov_b32 s3, -1
	s_and_saveexec_b32 s4, s5
	s_cbranch_execz .LBB3_223
; %bb.220:
	s_mov_b32 s5, 0
	s_mov_b32 s7, exec_lo
	v_cmpx_eq_f32_e32 v4, v2
; %bb.221:
	v_cmp_lt_f32_e64 s3, v5, v3
	s_and_b32 s5, s3, exec_lo
; %bb.222:
	s_or_b32 exec_lo, exec_lo, s7
	s_delay_alu instid0(SALU_CYCLE_1)
	s_or_not1_b32 s3, s5, exec_lo
.LBB3_223:
	s_or_b32 exec_lo, exec_lo, s4
	s_delay_alu instid0(SALU_CYCLE_1)
	s_and_b32 s5, s3, exec_lo
.LBB3_224:
	s_or_b32 exec_lo, exec_lo, s6
	s_xor_b32 s3, s5, -1
                                        ; implicit-def: $vgpr6_vgpr7
	s_delay_alu instid0(SALU_CYCLE_1) | instskip(NEXT) | instid1(SALU_CYCLE_1)
	s_and_saveexec_b32 s4, s3
	s_xor_b32 s3, exec_lo, s4
; %bb.225:
	ds_load_b64 v[6:7], v8 offset:8
                                        ; implicit-def: $vgpr12
; %bb.226:
	s_or_saveexec_b32 s3, s3
	s_wait_dscnt 0x0
	v_mov_b64_e32 v[8:9], v[4:5]
	s_xor_b32 exec_lo, exec_lo, s3
; %bb.227:
	ds_load_b64 v[8:9], v12 offset:8
	v_mov_b64_e32 v[6:7], v[2:3]
; %bb.228:
	s_or_b32 exec_lo, exec_lo, s3
	v_add_nc_u32_e32 v12, 1, v10
	s_delay_alu instid0(VALU_DEP_1) | instskip(NEXT) | instid1(VALU_DEP_1)
	v_dual_cndmask_b32 v14, v10, v12, s5 :: v_dual_add_nc_u32 v10, 1, v11
	v_cmp_ge_i32_e64 s3, v14, v23
	s_and_saveexec_b32 s4, s3
	s_delay_alu instid0(SALU_CYCLE_1) | instskip(NEXT) | instid1(SALU_CYCLE_1)
	s_xor_b32 s3, exec_lo, s4
	s_or_saveexec_b32 s7, s3
	v_cndmask_b32_e64 v15, v10, v11, s5
	s_mov_b32 s6, 0
	s_xor_b32 exec_lo, exec_lo, s7
	s_cbranch_execz .LBB3_234
; %bb.229:
	s_delay_alu instid0(VALU_DEP_1)
	v_cmp_lt_i32_e64 s3, v15, v22
	s_wait_dscnt 0x0
	v_cmp_nlt_f32_e64 s4, v8, v6
	s_and_b32 s6, s3, s4
	s_mov_b32 s3, -1
	s_and_saveexec_b32 s4, s6
	s_cbranch_execz .LBB3_233
; %bb.230:
	s_mov_b32 s6, 0
	s_mov_b32 s8, exec_lo
	v_cmpx_eq_f32_e32 v8, v6
; %bb.231:
	v_cmp_lt_f32_e64 s3, v9, v7
	s_and_b32 s6, s3, exec_lo
; %bb.232:
	s_or_b32 exec_lo, exec_lo, s8
	s_delay_alu instid0(SALU_CYCLE_1)
	s_or_not1_b32 s3, s6, exec_lo
.LBB3_233:
	s_or_b32 exec_lo, exec_lo, s4
	s_delay_alu instid0(SALU_CYCLE_1)
	s_and_b32 s6, s3, exec_lo
.LBB3_234:
	s_or_b32 exec_lo, exec_lo, s7
	s_xor_b32 s3, s6, -1
                                        ; implicit-def: $vgpr10_vgpr11
	s_delay_alu instid0(SALU_CYCLE_1) | instskip(NEXT) | instid1(SALU_CYCLE_1)
	s_and_saveexec_b32 s4, s3
	s_xor_b32 s3, exec_lo, s4
; %bb.235:
	v_lshl_add_u32 v10, v15, 3, v20
	ds_load_b64 v[10:11], v10 offset:8
; %bb.236:
	s_or_saveexec_b32 s3, s3
	s_wait_dscnt 0x0
	v_mov_b64_e32 v[12:13], v[8:9]
	s_xor_b32 exec_lo, exec_lo, s3
; %bb.237:
	v_lshl_add_u32 v10, v14, 3, v20
	ds_load_b64 v[12:13], v10 offset:8
	v_mov_b64_e32 v[10:11], v[6:7]
; %bb.238:
	s_or_b32 exec_lo, exec_lo, s3
	v_add_nc_u32_e32 v16, 1, v14
	s_delay_alu instid0(VALU_DEP_1) | instskip(NEXT) | instid1(VALU_DEP_1)
	v_dual_cndmask_b32 v18, v14, v16, s6 :: v_dual_add_nc_u32 v14, 1, v15
	v_cmp_ge_i32_e64 s3, v18, v23
	s_and_saveexec_b32 s4, s3
	s_delay_alu instid0(SALU_CYCLE_1) | instskip(NEXT) | instid1(SALU_CYCLE_1)
	s_xor_b32 s3, exec_lo, s4
	s_or_saveexec_b32 s8, s3
	v_cndmask_b32_e64 v19, v14, v15, s6
	s_mov_b32 s7, 0
	s_xor_b32 exec_lo, exec_lo, s8
	s_cbranch_execz .LBB3_244
; %bb.239:
	s_delay_alu instid0(VALU_DEP_1)
	v_cmp_lt_i32_e64 s3, v19, v22
	s_wait_dscnt 0x0
	v_cmp_nlt_f32_e64 s4, v12, v10
	s_and_b32 s7, s3, s4
	s_mov_b32 s3, -1
	s_and_saveexec_b32 s4, s7
	s_cbranch_execz .LBB3_243
; %bb.240:
	s_mov_b32 s7, 0
	s_mov_b32 s9, exec_lo
	v_cmpx_eq_f32_e32 v12, v10
; %bb.241:
	v_cmp_lt_f32_e64 s3, v13, v11
	s_and_b32 s7, s3, exec_lo
; %bb.242:
	s_or_b32 exec_lo, exec_lo, s9
	s_delay_alu instid0(SALU_CYCLE_1)
	s_or_not1_b32 s3, s7, exec_lo
.LBB3_243:
	s_or_b32 exec_lo, exec_lo, s4
	s_delay_alu instid0(SALU_CYCLE_1)
	s_and_b32 s7, s3, exec_lo
.LBB3_244:
	s_or_b32 exec_lo, exec_lo, s8
	s_xor_b32 s3, s7, -1
                                        ; implicit-def: $vgpr14_vgpr15
	s_delay_alu instid0(SALU_CYCLE_1) | instskip(NEXT) | instid1(SALU_CYCLE_1)
	s_and_saveexec_b32 s4, s3
	s_xor_b32 s3, exec_lo, s4
; %bb.245:
	v_lshl_add_u32 v14, v19, 3, v20
                                        ; implicit-def: $vgpr20
	ds_load_b64 v[14:15], v14 offset:8
; %bb.246:
	s_or_saveexec_b32 s3, s3
	s_wait_dscnt 0x0
	v_mov_b64_e32 v[16:17], v[12:13]
	s_xor_b32 exec_lo, exec_lo, s3
; %bb.247:
	v_lshl_add_u32 v14, v18, 3, v20
	ds_load_b64 v[16:17], v14 offset:8
	v_mov_b64_e32 v[14:15], v[10:11]
; %bb.248:
	s_or_b32 exec_lo, exec_lo, s3
	v_add_nc_u32_e32 v20, 1, v18
	s_mov_b32 s4, 0
	s_mov_b32 s8, exec_lo
	s_delay_alu instid0(VALU_DEP_1) | instskip(NEXT) | instid1(VALU_DEP_1)
	v_cndmask_b32_e64 v18, v18, v20, s7
	v_cmpx_lt_i32_e64 v18, v23
	s_cbranch_execnz .LBB3_254
; %bb.249:
	s_or_b32 exec_lo, exec_lo, s8
	s_and_saveexec_b32 s3, vcc_lo
	s_cbranch_execnz .LBB3_259
.LBB3_250:
	s_or_b32 exec_lo, exec_lo, s3
	s_and_saveexec_b32 s3, s0
	s_cbranch_execnz .LBB3_260
.LBB3_251:
	s_or_b32 exec_lo, exec_lo, s3
	s_and_saveexec_b32 s0, s1
	s_cbranch_execnz .LBB3_261
.LBB3_252:
	s_or_b32 exec_lo, exec_lo, s0
	s_and_saveexec_b32 s0, s2
	s_cbranch_execnz .LBB3_262
.LBB3_253:
	s_endpgm
.LBB3_254:
	v_add_nc_u32_e32 v18, 1, v19
	s_wait_dscnt 0x0
	v_cmp_nlt_f32_e64 s3, v16, v14
	s_delay_alu instid0(VALU_DEP_2) | instskip(NEXT) | instid1(VALU_DEP_1)
	v_cndmask_b32_e64 v18, v18, v19, s7
	v_cmp_lt_i32_e64 s4, v18, v22
	s_and_b32 s9, s4, s3
	s_mov_b32 s3, -1
	s_and_saveexec_b32 s4, s9
	s_cbranch_execz .LBB3_258
; %bb.255:
	s_mov_b32 s9, 0
	s_mov_b32 s10, exec_lo
	v_cmpx_eq_f32_e32 v16, v14
; %bb.256:
	v_cmp_lt_f32_e64 s3, v17, v15
	s_and_b32 s9, s3, exec_lo
; %bb.257:
	s_or_b32 exec_lo, exec_lo, s10
	s_delay_alu instid0(SALU_CYCLE_1)
	s_or_not1_b32 s3, s9, exec_lo
.LBB3_258:
	s_or_b32 exec_lo, exec_lo, s4
	s_delay_alu instid0(SALU_CYCLE_1)
	s_and_b32 s4, s3, exec_lo
	s_or_b32 exec_lo, exec_lo, s8
	s_and_saveexec_b32 s3, vcc_lo
	s_cbranch_execz .LBB3_250
.LBB3_259:
	v_dual_cndmask_b32 v2, v2, v4, s5 :: v_dual_cndmask_b32 v3, v3, v5, s5
	global_store_b64 v[0:1], v[2:3], off
	s_wait_xcnt 0x0
	s_or_b32 exec_lo, exec_lo, s3
	s_and_saveexec_b32 s3, s0
	s_cbranch_execz .LBB3_251
.LBB3_260:
	v_dual_cndmask_b32 v2, v6, v8, s6 :: v_dual_cndmask_b32 v3, v7, v9, s6
	global_store_b64 v[0:1], v[2:3], off offset:8
	s_wait_xcnt 0x0
	s_or_b32 exec_lo, exec_lo, s3
	s_and_saveexec_b32 s0, s1
	s_cbranch_execz .LBB3_252
.LBB3_261:
	v_dual_cndmask_b32 v2, v10, v12, s7 :: v_dual_cndmask_b32 v3, v11, v13, s7
	global_store_b64 v[0:1], v[2:3], off offset:16
	s_wait_xcnt 0x0
	s_or_b32 exec_lo, exec_lo, s0
	s_and_saveexec_b32 s0, s2
	s_cbranch_execz .LBB3_253
.LBB3_262:
	s_wait_dscnt 0x0
	v_dual_cndmask_b32 v3, v15, v17, s4 :: v_dual_cndmask_b32 v2, v14, v16, s4
	global_store_b64 v[0:1], v[2:3], off offset:24
	s_endpgm
	.section	.rodata,"a",@progbits
	.p2align	6, 0x0
	.amdhsa_kernel _Z19sort_keys_segmentedILj256ELj32ELj4ELb0EN10test_utils16custom_test_typeIfEENS0_4lessEEvPT3_PKjT4_
		.amdhsa_group_segment_fixed_size 8256
		.amdhsa_private_segment_fixed_size 0
		.amdhsa_kernarg_size 20
		.amdhsa_user_sgpr_count 2
		.amdhsa_user_sgpr_dispatch_ptr 0
		.amdhsa_user_sgpr_queue_ptr 0
		.amdhsa_user_sgpr_kernarg_segment_ptr 1
		.amdhsa_user_sgpr_dispatch_id 0
		.amdhsa_user_sgpr_kernarg_preload_length 0
		.amdhsa_user_sgpr_kernarg_preload_offset 0
		.amdhsa_user_sgpr_private_segment_size 0
		.amdhsa_wavefront_size32 1
		.amdhsa_uses_dynamic_stack 0
		.amdhsa_enable_private_segment 0
		.amdhsa_system_sgpr_workgroup_id_x 1
		.amdhsa_system_sgpr_workgroup_id_y 0
		.amdhsa_system_sgpr_workgroup_id_z 0
		.amdhsa_system_sgpr_workgroup_info 0
		.amdhsa_system_vgpr_workitem_id 0
		.amdhsa_next_free_vgpr 27
		.amdhsa_next_free_sgpr 11
		.amdhsa_named_barrier_count 0
		.amdhsa_reserve_vcc 1
		.amdhsa_float_round_mode_32 0
		.amdhsa_float_round_mode_16_64 0
		.amdhsa_float_denorm_mode_32 3
		.amdhsa_float_denorm_mode_16_64 3
		.amdhsa_fp16_overflow 0
		.amdhsa_memory_ordered 1
		.amdhsa_forward_progress 1
		.amdhsa_inst_pref_size 59
		.amdhsa_round_robin_scheduling 0
		.amdhsa_exception_fp_ieee_invalid_op 0
		.amdhsa_exception_fp_denorm_src 0
		.amdhsa_exception_fp_ieee_div_zero 0
		.amdhsa_exception_fp_ieee_overflow 0
		.amdhsa_exception_fp_ieee_underflow 0
		.amdhsa_exception_fp_ieee_inexact 0
		.amdhsa_exception_int_div_zero 0
	.end_amdhsa_kernel
	.section	.text._Z19sort_keys_segmentedILj256ELj32ELj4ELb0EN10test_utils16custom_test_typeIfEENS0_4lessEEvPT3_PKjT4_,"axG",@progbits,_Z19sort_keys_segmentedILj256ELj32ELj4ELb0EN10test_utils16custom_test_typeIfEENS0_4lessEEvPT3_PKjT4_,comdat
.Lfunc_end3:
	.size	_Z19sort_keys_segmentedILj256ELj32ELj4ELb0EN10test_utils16custom_test_typeIfEENS0_4lessEEvPT3_PKjT4_, .Lfunc_end3-_Z19sort_keys_segmentedILj256ELj32ELj4ELb0EN10test_utils16custom_test_typeIfEENS0_4lessEEvPT3_PKjT4_
                                        ; -- End function
	.set _Z19sort_keys_segmentedILj256ELj32ELj4ELb0EN10test_utils16custom_test_typeIfEENS0_4lessEEvPT3_PKjT4_.num_vgpr, 27
	.set _Z19sort_keys_segmentedILj256ELj32ELj4ELb0EN10test_utils16custom_test_typeIfEENS0_4lessEEvPT3_PKjT4_.num_agpr, 0
	.set _Z19sort_keys_segmentedILj256ELj32ELj4ELb0EN10test_utils16custom_test_typeIfEENS0_4lessEEvPT3_PKjT4_.numbered_sgpr, 11
	.set _Z19sort_keys_segmentedILj256ELj32ELj4ELb0EN10test_utils16custom_test_typeIfEENS0_4lessEEvPT3_PKjT4_.num_named_barrier, 0
	.set _Z19sort_keys_segmentedILj256ELj32ELj4ELb0EN10test_utils16custom_test_typeIfEENS0_4lessEEvPT3_PKjT4_.private_seg_size, 0
	.set _Z19sort_keys_segmentedILj256ELj32ELj4ELb0EN10test_utils16custom_test_typeIfEENS0_4lessEEvPT3_PKjT4_.uses_vcc, 1
	.set _Z19sort_keys_segmentedILj256ELj32ELj4ELb0EN10test_utils16custom_test_typeIfEENS0_4lessEEvPT3_PKjT4_.uses_flat_scratch, 0
	.set _Z19sort_keys_segmentedILj256ELj32ELj4ELb0EN10test_utils16custom_test_typeIfEENS0_4lessEEvPT3_PKjT4_.has_dyn_sized_stack, 0
	.set _Z19sort_keys_segmentedILj256ELj32ELj4ELb0EN10test_utils16custom_test_typeIfEENS0_4lessEEvPT3_PKjT4_.has_recursion, 0
	.set _Z19sort_keys_segmentedILj256ELj32ELj4ELb0EN10test_utils16custom_test_typeIfEENS0_4lessEEvPT3_PKjT4_.has_indirect_call, 0
	.section	.AMDGPU.csdata,"",@progbits
; Kernel info:
; codeLenInByte = 7480
; TotalNumSgprs: 13
; NumVgprs: 27
; ScratchSize: 0
; MemoryBound: 0
; FloatMode: 240
; IeeeMode: 1
; LDSByteSize: 8256 bytes/workgroup (compile time only)
; SGPRBlocks: 0
; VGPRBlocks: 1
; NumSGPRsForWavesPerEU: 13
; NumVGPRsForWavesPerEU: 27
; NamedBarCnt: 0
; Occupancy: 16
; WaveLimiterHint : 0
; COMPUTE_PGM_RSRC2:SCRATCH_EN: 0
; COMPUTE_PGM_RSRC2:USER_SGPR: 2
; COMPUTE_PGM_RSRC2:TRAP_HANDLER: 0
; COMPUTE_PGM_RSRC2:TGID_X_EN: 1
; COMPUTE_PGM_RSRC2:TGID_Y_EN: 0
; COMPUTE_PGM_RSRC2:TGID_Z_EN: 0
; COMPUTE_PGM_RSRC2:TIDIG_COMP_CNT: 0
	.section	.text._Z19sort_keys_segmentedILj256ELj32ELj2ELb0EN10test_utils16custom_test_typeIfEENS0_4lessEEvPT3_PKjT4_,"axG",@progbits,_Z19sort_keys_segmentedILj256ELj32ELj2ELb0EN10test_utils16custom_test_typeIfEENS0_4lessEEvPT3_PKjT4_,comdat
	.protected	_Z19sort_keys_segmentedILj256ELj32ELj2ELb0EN10test_utils16custom_test_typeIfEENS0_4lessEEvPT3_PKjT4_ ; -- Begin function _Z19sort_keys_segmentedILj256ELj32ELj2ELb0EN10test_utils16custom_test_typeIfEENS0_4lessEEvPT3_PKjT4_
	.globl	_Z19sort_keys_segmentedILj256ELj32ELj2ELb0EN10test_utils16custom_test_typeIfEENS0_4lessEEvPT3_PKjT4_
	.p2align	8
	.type	_Z19sort_keys_segmentedILj256ELj32ELj2ELb0EN10test_utils16custom_test_typeIfEENS0_4lessEEvPT3_PKjT4_,@function
_Z19sort_keys_segmentedILj256ELj32ELj2ELb0EN10test_utils16custom_test_typeIfEENS0_4lessEEvPT3_PKjT4_: ; @_Z19sort_keys_segmentedILj256ELj32ELj2ELb0EN10test_utils16custom_test_typeIfEENS0_4lessEEvPT3_PKjT4_
; %bb.0:
	s_load_b128 s[0:3], s[0:1], 0x0
	s_bfe_u32 s4, ttmp6, 0x4000c
	s_and_b32 s5, ttmp6, 15
	s_add_co_i32 s4, s4, 1
	s_getreg_b32 s6, hwreg(HW_REG_IB_STS2, 6, 4)
	s_mul_i32 s4, ttmp9, s4
	v_dual_mov_b32 v7, 0 :: v_dual_lshrrev_b32 v8, 5, v0
	s_add_co_i32 s5, s5, s4
	s_cmp_eq_u32 s6, 0
	v_mbcnt_lo_u32_b32 v2, -1, 0
	s_cselect_b32 s4, ttmp9, s5
	v_mov_b32_e32 v3, 0
	v_lshl_or_b32 v0, s4, 3, v8
	s_delay_alu instid0(VALU_DEP_1)
	v_dual_lshlrev_b32 v11, 1, v2 :: v_dual_lshlrev_b32 v6, 6, v0
	s_wait_kmcnt 0x0
	global_load_b32 v10, v0, s[2:3] scale_offset
	s_wait_xcnt 0x0
	v_lshl_add_u64 v[0:1], v[6:7], 3, s[0:1]
	v_dual_lshlrev_b32 v6, 4, v2 :: v_dual_mov_b32 v2, 0
	s_delay_alu instid0(VALU_DEP_1)
	v_add_nc_u64_e32 v[0:1], v[0:1], v[6:7]
	s_wait_loadcnt 0x0
	v_cmp_lt_u32_e32 vcc_lo, v11, v10
	s_and_saveexec_b32 s0, vcc_lo
	s_cbranch_execz .LBB4_2
; %bb.1:
	global_load_b64 v[2:3], v[0:1], off
.LBB4_2:
	s_wait_xcnt 0x0
	s_or_b32 exec_lo, exec_lo, s0
	v_dual_mov_b32 v5, 0 :: v_dual_bitop2_b32 v6, 1, v11 bitop3:0x54
	s_delay_alu instid0(VALU_DEP_1)
	v_cmp_lt_u32_e64 s0, v6, v10
	s_and_saveexec_b32 s1, s0
	s_cbranch_execz .LBB4_4
; %bb.3:
	global_load_b64 v[4:5], v[0:1], off offset:8
	s_wait_loadcnt 0x0
	v_mov_b32_e32 v7, v4
.LBB4_4:
	s_or_b32 exec_lo, exec_lo, s1
	s_get_pc_i64 s[2:3]
	s_add_nc_u64 s[2:3], s[2:3], _ZN9sort_lastIN10test_utils4lessENS0_16custom_test_typeIfEEE5valueE@rel64+4
	v_cmp_lt_i32_e64 s1, v6, v10
	s_load_b64 s[4:5], s[2:3], 0x0
	s_wait_kmcnt 0x0
	v_cndmask_b32_e64 v5, s5, v5, s1
	v_cndmask_b32_e64 v4, s4, v7, s1
	s_mov_b32 s4, exec_lo
	v_cmpx_lt_i32_e64 v11, v10
	s_cbranch_execz .LBB4_8
; %bb.5:
	s_wait_loadcnt 0x0
	v_cmp_eq_f32_e64 s1, v4, v2
	v_cmp_lt_f32_e64 s2, v5, v3
	v_cmp_lt_f32_e64 s3, v4, v2
	v_dual_mov_b32 v6, v4 :: v_dual_mov_b32 v7, v3
	s_and_b32 s1, s1, s2
	s_delay_alu instid0(SALU_CYCLE_1) | instskip(NEXT) | instid1(SALU_CYCLE_1)
	s_or_b32 s2, s3, s1
	s_and_saveexec_b32 s1, s2
; %bb.6:
	v_dual_mov_b32 v6, v2 :: v_dual_mov_b32 v7, v5
	v_dual_mov_b32 v2, v4 :: v_dual_mov_b32 v5, v3
; %bb.7:
	s_or_b32 exec_lo, exec_lo, s1
	s_delay_alu instid0(VALU_DEP_2)
	v_dual_mov_b32 v3, v7 :: v_dual_mov_b32 v4, v6
.LBB4_8:
	s_or_b32 exec_lo, exec_lo, s4
	v_and_b32_e32 v6, 60, v11
	v_and_b32_e32 v7, 2, v11
	v_mul_u32_u24_e32 v12, 0x208, v8
	s_mov_b32 s3, 0
	s_mov_b32 s2, exec_lo
	s_delay_alu instid0(VALU_DEP_2) | instskip(SKIP_1) | instid1(VALU_DEP_1)
	v_min_i32_e32 v9, v10, v7
	v_min_i32_e32 v6, v10, v6
	; wave barrier
	v_add_min_i32_e64 v14, v6, 2, v10
	s_delay_alu instid0(VALU_DEP_1) | instskip(NEXT) | instid1(VALU_DEP_1)
	v_add_min_i32_e64 v15, v14, 2, v10
	v_sub_nc_u32_e32 v7, v15, v14
	s_delay_alu instid0(VALU_DEP_1) | instskip(SKIP_2) | instid1(VALU_DEP_3)
	v_dual_sub_nc_u32 v13, v9, v7 :: v_dual_sub_nc_u32 v16, v14, v6
	v_lshlrev_b32_e32 v18, 3, v6
	v_cmp_ge_i32_e64 s1, v9, v7
	v_dual_lshlrev_b32 v17, 3, v11 :: v_dual_min_i32 v16, v9, v16
	s_delay_alu instid0(VALU_DEP_2) | instskip(NEXT) | instid1(VALU_DEP_2)
	v_cndmask_b32_e64 v7, 0, v13, s1
	v_mad_u32_u24 v13, 0x208, v8, v17
	v_mad_u32_u24 v8, 0x208, v8, v18
	s_wait_loadcnt 0x0
	ds_store_2addr_b64 v13, v[2:3], v[4:5] offset1:1
	; wave barrier
	v_cmpx_lt_i32_e64 v7, v16
	s_cbranch_execz .LBB4_16
; %bb.9:
	v_dual_lshlrev_b32 v2, 3, v14 :: v_dual_lshlrev_b32 v3, 3, v9
                                        ; implicit-def: $sgpr4
	s_delay_alu instid0(VALU_DEP_1)
	v_add3_u32 v2, v12, v2, v3
	s_branch .LBB4_12
.LBB4_10:                               ;   in Loop: Header=BB4_12 Depth=1
	s_or_b32 exec_lo, exec_lo, s7
	s_delay_alu instid0(SALU_CYCLE_1) | instskip(SKIP_1) | instid1(SALU_CYCLE_1)
	s_and_not1_b32 s1, s4, exec_lo
	s_and_b32 s4, s6, exec_lo
	s_or_b32 s4, s1, s4
.LBB4_11:                               ;   in Loop: Header=BB4_12 Depth=1
	s_or_b32 exec_lo, exec_lo, s5
	v_dual_add_nc_u32 v4, 1, v3 :: v_dual_cndmask_b32 v16, v16, v3, s4
	s_delay_alu instid0(VALU_DEP_1) | instskip(NEXT) | instid1(VALU_DEP_1)
	v_cndmask_b32_e64 v7, v4, v7, s4
	v_cmp_ge_i32_e64 s1, v7, v16
	s_or_b32 s3, s1, s3
	s_delay_alu instid0(SALU_CYCLE_1)
	s_and_not1_b32 exec_lo, exec_lo, s3
	s_cbranch_execz .LBB4_15
.LBB4_12:                               ; =>This Inner Loop Header: Depth=1
	v_sub_nc_u32_e32 v3, v16, v7
	s_or_b32 s4, s4, exec_lo
	s_mov_b32 s5, exec_lo
	s_delay_alu instid0(VALU_DEP_1) | instskip(NEXT) | instid1(VALU_DEP_1)
	v_lshrrev_b32_e32 v3, 1, v3
	v_add_nc_u32_e32 v3, v3, v7
	s_delay_alu instid0(VALU_DEP_1) | instskip(SKIP_1) | instid1(VALU_DEP_2)
	v_not_b32_e32 v5, v3
	v_lshl_add_u32 v4, v3, 3, v8
	v_lshl_add_u32 v5, v5, 3, v2
	ds_load_b32 v17, v4
	ds_load_b32 v18, v5
	s_wait_dscnt 0x0
	v_cmpx_nlt_f32_e32 v18, v17
	s_cbranch_execz .LBB4_11
; %bb.13:                               ;   in Loop: Header=BB4_12 Depth=1
	s_mov_b32 s6, 0
	s_mov_b32 s7, exec_lo
	v_cmpx_eq_f32_e32 v18, v17
	s_cbranch_execz .LBB4_10
; %bb.14:                               ;   in Loop: Header=BB4_12 Depth=1
	ds_load_b32 v5, v5 offset:4
	ds_load_b32 v4, v4 offset:4
	s_wait_dscnt 0x0
	v_cmp_lt_f32_e64 s1, v5, v4
	s_and_b32 s6, s1, exec_lo
	s_branch .LBB4_10
.LBB4_15:
	s_or_b32 exec_lo, exec_lo, s3
.LBB4_16:
	s_delay_alu instid0(SALU_CYCLE_1) | instskip(SKIP_2) | instid1(VALU_DEP_2)
	s_or_b32 exec_lo, exec_lo, s2
	v_add_nc_u32_e32 v2, v14, v9
	v_lshl_add_u32 v8, v7, 3, v8
	v_sub_nc_u32_e32 v16, v2, v7
	s_delay_alu instid0(VALU_DEP_1) | instskip(SKIP_4) | instid1(SALU_CYCLE_1)
	v_lshl_add_u32 v18, v16, 3, v12
	v_cmp_le_i32_e64 s1, v15, v16
	ds_load_b64 v[2:3], v8
	ds_load_b64 v[4:5], v18
	s_and_saveexec_b32 s2, s1
	s_xor_b32 s1, exec_lo, s2
	s_delay_alu instid0(SALU_CYCLE_1)
	s_or_saveexec_b32 s4, s1
	v_add_nc_u32_e32 v17, v7, v6
	s_mov_b32 s3, 0
	s_xor_b32 exec_lo, exec_lo, s4
	s_cbranch_execz .LBB4_22
; %bb.17:
	s_delay_alu instid0(VALU_DEP_1)
	v_cmp_gt_i32_e64 s1, v14, v17
	s_wait_dscnt 0x0
	v_cmp_nlt_f32_e64 s2, v4, v2
	s_and_b32 s3, s1, s2
	s_mov_b32 s1, -1
	s_and_saveexec_b32 s2, s3
	s_cbranch_execz .LBB4_21
; %bb.18:
	s_mov_b32 s3, 0
	s_mov_b32 s5, exec_lo
	v_cmpx_eq_f32_e32 v4, v2
; %bb.19:
	v_cmp_lt_f32_e64 s1, v5, v3
	s_and_b32 s3, s1, exec_lo
; %bb.20:
	s_or_b32 exec_lo, exec_lo, s5
	s_delay_alu instid0(SALU_CYCLE_1)
	s_or_not1_b32 s1, s3, exec_lo
.LBB4_21:
	s_or_b32 exec_lo, exec_lo, s2
	s_delay_alu instid0(SALU_CYCLE_1)
	s_and_b32 s3, s1, exec_lo
.LBB4_22:
	s_or_b32 exec_lo, exec_lo, s4
	s_xor_b32 s1, s3, -1
                                        ; implicit-def: $vgpr6_vgpr7
	s_delay_alu instid0(SALU_CYCLE_1) | instskip(NEXT) | instid1(SALU_CYCLE_1)
	s_and_saveexec_b32 s2, s1
	s_xor_b32 s1, exec_lo, s2
; %bb.23:
	ds_load_b64 v[6:7], v8 offset:8
                                        ; implicit-def: $vgpr18
; %bb.24:
	s_or_saveexec_b32 s1, s1
	s_wait_dscnt 0x0
	v_mov_b64_e32 v[8:9], v[4:5]
	s_xor_b32 exec_lo, exec_lo, s1
; %bb.25:
	ds_load_b64 v[8:9], v18 offset:8
	v_mov_b64_e32 v[6:7], v[2:3]
; %bb.26:
	s_or_b32 exec_lo, exec_lo, s1
	v_add_nc_u32_e32 v18, 1, v16
	s_mov_b32 s2, 0
	s_mov_b32 s4, exec_lo
	s_delay_alu instid0(VALU_DEP_1) | instskip(NEXT) | instid1(VALU_DEP_1)
	v_cndmask_b32_e64 v16, v16, v18, s3
	v_cmpx_lt_i32_e64 v16, v15
	s_cbranch_execz .LBB4_32
; %bb.27:
	v_add_nc_u32_e32 v15, 1, v17
	s_wait_dscnt 0x0
	v_cmp_nlt_f32_e64 s1, v8, v6
	s_delay_alu instid0(VALU_DEP_2) | instskip(NEXT) | instid1(VALU_DEP_1)
	v_cndmask_b32_e64 v15, v15, v17, s3
	v_cmp_lt_i32_e64 s2, v15, v14
	s_and_b32 s5, s2, s1
	s_mov_b32 s1, -1
	s_and_saveexec_b32 s2, s5
	s_cbranch_execz .LBB4_31
; %bb.28:
	s_mov_b32 s5, 0
	s_mov_b32 s6, exec_lo
	v_cmpx_eq_f32_e32 v8, v6
; %bb.29:
	v_cmp_lt_f32_e64 s1, v9, v7
	s_and_b32 s5, s1, exec_lo
; %bb.30:
	s_or_b32 exec_lo, exec_lo, s6
	s_delay_alu instid0(SALU_CYCLE_1)
	s_or_not1_b32 s1, s5, exec_lo
.LBB4_31:
	s_or_b32 exec_lo, exec_lo, s2
	s_delay_alu instid0(SALU_CYCLE_1)
	s_and_b32 s2, s1, exec_lo
.LBB4_32:
	s_or_b32 exec_lo, exec_lo, s4
	v_dual_cndmask_b32 v4, v2, v4, s3 :: v_dual_bitop2_b32 v17, 6, v11 bitop3:0x40
	s_wait_dscnt 0x0
	v_dual_cndmask_b32 v5, v3, v5, s3 :: v_dual_cndmask_b32 v6, v6, v8, s2
	s_delay_alu instid0(VALU_DEP_2) | instskip(SKIP_3) | instid1(VALU_DEP_2)
	v_min_i32_e32 v18, v10, v17
	v_and_b32_e32 v14, 56, v11
	; wave barrier
	v_cndmask_b32_e64 v7, v7, v9, s2
	s_mov_b32 s2, exec_lo
	v_min_i32_e32 v16, v10, v14
	ds_store_2addr_b64 v13, v[4:5], v[6:7] offset1:1
	; wave barrier
	v_add_min_i32_e64 v14, v16, 4, v10
	s_delay_alu instid0(VALU_DEP_1) | instskip(NEXT) | instid1(VALU_DEP_1)
	v_add_min_i32_e64 v15, v14, 4, v10
	v_dual_sub_nc_u32 v17, v15, v14 :: v_dual_sub_nc_u32 v20, v14, v16
	v_lshl_add_u32 v2, v16, 3, v12
	s_delay_alu instid0(VALU_DEP_2) | instskip(SKIP_1) | instid1(VALU_DEP_1)
	v_sub_nc_u32_e32 v19, v18, v17
	v_cmp_ge_i32_e64 s1, v18, v17
	v_dual_cndmask_b32 v17, 0, v19, s1 :: v_dual_min_i32 v3, v18, v20
	s_delay_alu instid0(VALU_DEP_1)
	v_cmpx_lt_i32_e64 v17, v3
	s_cbranch_execz .LBB4_40
; %bb.33:
	v_lshlrev_b32_e32 v4, 3, v14
	v_lshlrev_b32_e32 v5, 3, v18
	s_mov_b32 s3, 0
                                        ; implicit-def: $sgpr4
	s_delay_alu instid0(VALU_DEP_1)
	v_add3_u32 v4, v12, v4, v5
	s_branch .LBB4_36
.LBB4_34:                               ;   in Loop: Header=BB4_36 Depth=1
	s_or_b32 exec_lo, exec_lo, s7
	s_delay_alu instid0(SALU_CYCLE_1) | instskip(SKIP_1) | instid1(SALU_CYCLE_1)
	s_and_not1_b32 s1, s4, exec_lo
	s_and_b32 s4, s6, exec_lo
	s_or_b32 s4, s1, s4
.LBB4_35:                               ;   in Loop: Header=BB4_36 Depth=1
	s_or_b32 exec_lo, exec_lo, s5
	v_dual_add_nc_u32 v6, 1, v5 :: v_dual_cndmask_b32 v3, v3, v5, s4
	s_delay_alu instid0(VALU_DEP_1) | instskip(NEXT) | instid1(VALU_DEP_1)
	v_cndmask_b32_e64 v17, v6, v17, s4
	v_cmp_ge_i32_e64 s1, v17, v3
	s_or_b32 s3, s1, s3
	s_delay_alu instid0(SALU_CYCLE_1)
	s_and_not1_b32 exec_lo, exec_lo, s3
	s_cbranch_execz .LBB4_39
.LBB4_36:                               ; =>This Inner Loop Header: Depth=1
	v_sub_nc_u32_e32 v5, v3, v17
	s_or_b32 s4, s4, exec_lo
	s_mov_b32 s5, exec_lo
	s_delay_alu instid0(VALU_DEP_1) | instskip(NEXT) | instid1(VALU_DEP_1)
	v_lshrrev_b32_e32 v5, 1, v5
	v_add_nc_u32_e32 v5, v5, v17
	s_delay_alu instid0(VALU_DEP_1) | instskip(SKIP_1) | instid1(VALU_DEP_2)
	v_not_b32_e32 v7, v5
	v_lshl_add_u32 v6, v5, 3, v2
	v_lshl_add_u32 v7, v7, 3, v4
	ds_load_b32 v8, v6
	ds_load_b32 v9, v7
	s_wait_dscnt 0x0
	v_cmpx_nlt_f32_e32 v9, v8
	s_cbranch_execz .LBB4_35
; %bb.37:                               ;   in Loop: Header=BB4_36 Depth=1
	s_mov_b32 s6, 0
	s_mov_b32 s7, exec_lo
	v_cmpx_eq_f32_e32 v9, v8
	s_cbranch_execz .LBB4_34
; %bb.38:                               ;   in Loop: Header=BB4_36 Depth=1
	ds_load_b32 v7, v7 offset:4
	ds_load_b32 v6, v6 offset:4
	s_wait_dscnt 0x0
	v_cmp_lt_f32_e64 s1, v7, v6
	s_and_b32 s6, s1, exec_lo
	s_branch .LBB4_34
.LBB4_39:
	s_or_b32 exec_lo, exec_lo, s3
.LBB4_40:
	s_delay_alu instid0(SALU_CYCLE_1) | instskip(SKIP_2) | instid1(VALU_DEP_2)
	s_or_b32 exec_lo, exec_lo, s2
	v_add_nc_u32_e32 v3, v14, v18
	v_lshl_add_u32 v8, v17, 3, v2
	v_sub_nc_u32_e32 v18, v3, v17
	s_delay_alu instid0(VALU_DEP_1) | instskip(SKIP_4) | instid1(SALU_CYCLE_1)
	v_lshl_add_u32 v19, v18, 3, v12
	v_cmp_le_i32_e64 s1, v15, v18
	ds_load_b64 v[2:3], v8
	ds_load_b64 v[4:5], v19
	s_and_saveexec_b32 s2, s1
	s_xor_b32 s1, exec_lo, s2
	s_delay_alu instid0(SALU_CYCLE_1)
	s_or_saveexec_b32 s4, s1
	v_add_nc_u32_e32 v16, v17, v16
	s_mov_b32 s3, 0
	s_xor_b32 exec_lo, exec_lo, s4
	s_cbranch_execz .LBB4_46
; %bb.41:
	s_delay_alu instid0(VALU_DEP_1)
	v_cmp_gt_i32_e64 s1, v14, v16
	s_wait_dscnt 0x0
	v_cmp_nlt_f32_e64 s2, v4, v2
	s_and_b32 s3, s1, s2
	s_mov_b32 s1, -1
	s_and_saveexec_b32 s2, s3
	s_cbranch_execz .LBB4_45
; %bb.42:
	s_mov_b32 s3, 0
	s_mov_b32 s5, exec_lo
	v_cmpx_eq_f32_e32 v4, v2
; %bb.43:
	v_cmp_lt_f32_e64 s1, v5, v3
	s_and_b32 s3, s1, exec_lo
; %bb.44:
	s_or_b32 exec_lo, exec_lo, s5
	s_delay_alu instid0(SALU_CYCLE_1)
	s_or_not1_b32 s1, s3, exec_lo
.LBB4_45:
	s_or_b32 exec_lo, exec_lo, s2
	s_delay_alu instid0(SALU_CYCLE_1)
	s_and_b32 s3, s1, exec_lo
.LBB4_46:
	s_or_b32 exec_lo, exec_lo, s4
	s_xor_b32 s1, s3, -1
                                        ; implicit-def: $vgpr6_vgpr7
	s_delay_alu instid0(SALU_CYCLE_1) | instskip(NEXT) | instid1(SALU_CYCLE_1)
	s_and_saveexec_b32 s2, s1
	s_xor_b32 s1, exec_lo, s2
; %bb.47:
	ds_load_b64 v[6:7], v8 offset:8
                                        ; implicit-def: $vgpr19
; %bb.48:
	s_or_saveexec_b32 s1, s1
	s_wait_dscnt 0x0
	v_mov_b64_e32 v[8:9], v[4:5]
	s_xor_b32 exec_lo, exec_lo, s1
; %bb.49:
	ds_load_b64 v[8:9], v19 offset:8
	v_mov_b64_e32 v[6:7], v[2:3]
; %bb.50:
	s_or_b32 exec_lo, exec_lo, s1
	v_add_nc_u32_e32 v17, 1, v18
	s_mov_b32 s2, 0
	s_mov_b32 s4, exec_lo
	s_delay_alu instid0(VALU_DEP_1) | instskip(NEXT) | instid1(VALU_DEP_1)
	v_cndmask_b32_e64 v17, v18, v17, s3
	v_cmpx_lt_i32_e64 v17, v15
	s_cbranch_execz .LBB4_56
; %bb.51:
	v_add_nc_u32_e32 v15, 1, v16
	s_wait_dscnt 0x0
	v_cmp_nlt_f32_e64 s1, v8, v6
	s_delay_alu instid0(VALU_DEP_2) | instskip(NEXT) | instid1(VALU_DEP_1)
	v_cndmask_b32_e64 v15, v15, v16, s3
	v_cmp_lt_i32_e64 s2, v15, v14
	s_and_b32 s5, s2, s1
	s_mov_b32 s1, -1
	s_and_saveexec_b32 s2, s5
	s_cbranch_execz .LBB4_55
; %bb.52:
	s_mov_b32 s5, 0
	s_mov_b32 s6, exec_lo
	v_cmpx_eq_f32_e32 v8, v6
; %bb.53:
	v_cmp_lt_f32_e64 s1, v9, v7
	s_and_b32 s5, s1, exec_lo
; %bb.54:
	s_or_b32 exec_lo, exec_lo, s6
	s_delay_alu instid0(SALU_CYCLE_1)
	s_or_not1_b32 s1, s5, exec_lo
.LBB4_55:
	s_or_b32 exec_lo, exec_lo, s2
	s_delay_alu instid0(SALU_CYCLE_1)
	s_and_b32 s2, s1, exec_lo
.LBB4_56:
	s_or_b32 exec_lo, exec_lo, s4
	v_dual_cndmask_b32 v4, v2, v4, s3 :: v_dual_bitop2_b32 v17, 14, v11 bitop3:0x40
	s_wait_dscnt 0x0
	v_dual_cndmask_b32 v5, v3, v5, s3 :: v_dual_cndmask_b32 v6, v6, v8, s2
	s_delay_alu instid0(VALU_DEP_2) | instskip(SKIP_3) | instid1(VALU_DEP_2)
	v_min_i32_e32 v18, v10, v17
	v_and_b32_e32 v14, 48, v11
	; wave barrier
	v_cndmask_b32_e64 v7, v7, v9, s2
	s_mov_b32 s2, exec_lo
	v_min_i32_e32 v16, v10, v14
	ds_store_2addr_b64 v13, v[4:5], v[6:7] offset1:1
	; wave barrier
	v_add_min_i32_e64 v14, v16, 8, v10
	s_delay_alu instid0(VALU_DEP_1) | instskip(NEXT) | instid1(VALU_DEP_1)
	v_add_min_i32_e64 v15, v14, 8, v10
	v_dual_sub_nc_u32 v17, v15, v14 :: v_dual_sub_nc_u32 v20, v14, v16
	v_lshl_add_u32 v2, v16, 3, v12
	s_delay_alu instid0(VALU_DEP_2) | instskip(SKIP_1) | instid1(VALU_DEP_1)
	v_sub_nc_u32_e32 v19, v18, v17
	v_cmp_ge_i32_e64 s1, v18, v17
	v_dual_cndmask_b32 v17, 0, v19, s1 :: v_dual_min_i32 v3, v18, v20
	s_delay_alu instid0(VALU_DEP_1)
	v_cmpx_lt_i32_e64 v17, v3
	s_cbranch_execz .LBB4_64
; %bb.57:
	v_lshlrev_b32_e32 v4, 3, v14
	v_lshlrev_b32_e32 v5, 3, v18
	s_mov_b32 s3, 0
                                        ; implicit-def: $sgpr4
	s_delay_alu instid0(VALU_DEP_1)
	v_add3_u32 v4, v12, v4, v5
	s_branch .LBB4_60
.LBB4_58:                               ;   in Loop: Header=BB4_60 Depth=1
	s_or_b32 exec_lo, exec_lo, s7
	s_delay_alu instid0(SALU_CYCLE_1) | instskip(SKIP_1) | instid1(SALU_CYCLE_1)
	s_and_not1_b32 s1, s4, exec_lo
	s_and_b32 s4, s6, exec_lo
	s_or_b32 s4, s1, s4
.LBB4_59:                               ;   in Loop: Header=BB4_60 Depth=1
	s_or_b32 exec_lo, exec_lo, s5
	v_dual_add_nc_u32 v6, 1, v5 :: v_dual_cndmask_b32 v3, v3, v5, s4
	s_delay_alu instid0(VALU_DEP_1) | instskip(NEXT) | instid1(VALU_DEP_1)
	v_cndmask_b32_e64 v17, v6, v17, s4
	v_cmp_ge_i32_e64 s1, v17, v3
	s_or_b32 s3, s1, s3
	s_delay_alu instid0(SALU_CYCLE_1)
	s_and_not1_b32 exec_lo, exec_lo, s3
	s_cbranch_execz .LBB4_63
.LBB4_60:                               ; =>This Inner Loop Header: Depth=1
	v_sub_nc_u32_e32 v5, v3, v17
	s_or_b32 s4, s4, exec_lo
	s_mov_b32 s5, exec_lo
	s_delay_alu instid0(VALU_DEP_1) | instskip(NEXT) | instid1(VALU_DEP_1)
	v_lshrrev_b32_e32 v5, 1, v5
	v_add_nc_u32_e32 v5, v5, v17
	s_delay_alu instid0(VALU_DEP_1) | instskip(SKIP_1) | instid1(VALU_DEP_2)
	v_not_b32_e32 v7, v5
	v_lshl_add_u32 v6, v5, 3, v2
	v_lshl_add_u32 v7, v7, 3, v4
	ds_load_b32 v8, v6
	ds_load_b32 v9, v7
	s_wait_dscnt 0x0
	v_cmpx_nlt_f32_e32 v9, v8
	s_cbranch_execz .LBB4_59
; %bb.61:                               ;   in Loop: Header=BB4_60 Depth=1
	s_mov_b32 s6, 0
	s_mov_b32 s7, exec_lo
	v_cmpx_eq_f32_e32 v9, v8
	s_cbranch_execz .LBB4_58
; %bb.62:                               ;   in Loop: Header=BB4_60 Depth=1
	ds_load_b32 v7, v7 offset:4
	ds_load_b32 v6, v6 offset:4
	s_wait_dscnt 0x0
	v_cmp_lt_f32_e64 s1, v7, v6
	s_and_b32 s6, s1, exec_lo
	s_branch .LBB4_58
.LBB4_63:
	s_or_b32 exec_lo, exec_lo, s3
.LBB4_64:
	s_delay_alu instid0(SALU_CYCLE_1) | instskip(SKIP_2) | instid1(VALU_DEP_2)
	s_or_b32 exec_lo, exec_lo, s2
	v_add_nc_u32_e32 v3, v14, v18
	v_lshl_add_u32 v8, v17, 3, v2
	v_sub_nc_u32_e32 v18, v3, v17
	s_delay_alu instid0(VALU_DEP_1) | instskip(SKIP_4) | instid1(SALU_CYCLE_1)
	v_lshl_add_u32 v19, v18, 3, v12
	v_cmp_le_i32_e64 s1, v15, v18
	ds_load_b64 v[2:3], v8
	ds_load_b64 v[4:5], v19
	s_and_saveexec_b32 s2, s1
	s_xor_b32 s1, exec_lo, s2
	s_delay_alu instid0(SALU_CYCLE_1)
	s_or_saveexec_b32 s4, s1
	v_add_nc_u32_e32 v16, v17, v16
	s_mov_b32 s3, 0
	s_xor_b32 exec_lo, exec_lo, s4
	s_cbranch_execz .LBB4_70
; %bb.65:
	s_delay_alu instid0(VALU_DEP_1)
	v_cmp_gt_i32_e64 s1, v14, v16
	s_wait_dscnt 0x0
	v_cmp_nlt_f32_e64 s2, v4, v2
	s_and_b32 s3, s1, s2
	s_mov_b32 s1, -1
	s_and_saveexec_b32 s2, s3
	s_cbranch_execz .LBB4_69
; %bb.66:
	s_mov_b32 s3, 0
	s_mov_b32 s5, exec_lo
	v_cmpx_eq_f32_e32 v4, v2
; %bb.67:
	v_cmp_lt_f32_e64 s1, v5, v3
	s_and_b32 s3, s1, exec_lo
; %bb.68:
	s_or_b32 exec_lo, exec_lo, s5
	s_delay_alu instid0(SALU_CYCLE_1)
	s_or_not1_b32 s1, s3, exec_lo
.LBB4_69:
	s_or_b32 exec_lo, exec_lo, s2
	s_delay_alu instid0(SALU_CYCLE_1)
	s_and_b32 s3, s1, exec_lo
.LBB4_70:
	s_or_b32 exec_lo, exec_lo, s4
	s_xor_b32 s1, s3, -1
                                        ; implicit-def: $vgpr6_vgpr7
	s_delay_alu instid0(SALU_CYCLE_1) | instskip(NEXT) | instid1(SALU_CYCLE_1)
	s_and_saveexec_b32 s2, s1
	s_xor_b32 s1, exec_lo, s2
; %bb.71:
	ds_load_b64 v[6:7], v8 offset:8
                                        ; implicit-def: $vgpr19
; %bb.72:
	s_or_saveexec_b32 s1, s1
	s_wait_dscnt 0x0
	v_mov_b64_e32 v[8:9], v[4:5]
	s_xor_b32 exec_lo, exec_lo, s1
; %bb.73:
	ds_load_b64 v[8:9], v19 offset:8
	v_mov_b64_e32 v[6:7], v[2:3]
; %bb.74:
	s_or_b32 exec_lo, exec_lo, s1
	v_add_nc_u32_e32 v17, 1, v18
	s_mov_b32 s2, 0
	s_mov_b32 s4, exec_lo
	s_delay_alu instid0(VALU_DEP_1) | instskip(NEXT) | instid1(VALU_DEP_1)
	v_cndmask_b32_e64 v17, v18, v17, s3
	v_cmpx_lt_i32_e64 v17, v15
	s_cbranch_execz .LBB4_80
; %bb.75:
	v_add_nc_u32_e32 v15, 1, v16
	s_wait_dscnt 0x0
	v_cmp_nlt_f32_e64 s1, v8, v6
	s_delay_alu instid0(VALU_DEP_2) | instskip(NEXT) | instid1(VALU_DEP_1)
	v_cndmask_b32_e64 v15, v15, v16, s3
	v_cmp_lt_i32_e64 s2, v15, v14
	s_and_b32 s5, s2, s1
	s_mov_b32 s1, -1
	s_and_saveexec_b32 s2, s5
	s_cbranch_execz .LBB4_79
; %bb.76:
	s_mov_b32 s5, 0
	s_mov_b32 s6, exec_lo
	v_cmpx_eq_f32_e32 v8, v6
; %bb.77:
	v_cmp_lt_f32_e64 s1, v9, v7
	s_and_b32 s5, s1, exec_lo
; %bb.78:
	s_or_b32 exec_lo, exec_lo, s6
	s_delay_alu instid0(SALU_CYCLE_1)
	s_or_not1_b32 s1, s5, exec_lo
.LBB4_79:
	s_or_b32 exec_lo, exec_lo, s2
	s_delay_alu instid0(SALU_CYCLE_1)
	s_and_b32 s2, s1, exec_lo
.LBB4_80:
	s_or_b32 exec_lo, exec_lo, s4
	v_dual_cndmask_b32 v4, v2, v4, s3 :: v_dual_bitop2_b32 v17, 30, v11 bitop3:0x40
	s_wait_dscnt 0x0
	v_dual_cndmask_b32 v5, v3, v5, s3 :: v_dual_cndmask_b32 v6, v6, v8, s2
	s_delay_alu instid0(VALU_DEP_2) | instskip(SKIP_3) | instid1(VALU_DEP_2)
	v_min_i32_e32 v18, v10, v17
	v_and_b32_e32 v14, 32, v11
	; wave barrier
	v_cndmask_b32_e64 v7, v7, v9, s2
	s_mov_b32 s2, exec_lo
	v_min_i32_e32 v16, v10, v14
	ds_store_2addr_b64 v13, v[4:5], v[6:7] offset1:1
	; wave barrier
	v_add_min_i32_e64 v14, v16, 16, v10
	s_delay_alu instid0(VALU_DEP_1) | instskip(NEXT) | instid1(VALU_DEP_1)
	v_add_min_i32_e64 v15, v14, 16, v10
	v_dual_sub_nc_u32 v17, v15, v14 :: v_dual_sub_nc_u32 v20, v14, v16
	v_lshl_add_u32 v2, v16, 3, v12
	s_delay_alu instid0(VALU_DEP_2) | instskip(SKIP_1) | instid1(VALU_DEP_1)
	v_sub_nc_u32_e32 v19, v18, v17
	v_cmp_ge_i32_e64 s1, v18, v17
	v_dual_cndmask_b32 v17, 0, v19, s1 :: v_dual_min_i32 v3, v18, v20
	s_delay_alu instid0(VALU_DEP_1)
	v_cmpx_lt_i32_e64 v17, v3
	s_cbranch_execz .LBB4_88
; %bb.81:
	v_lshlrev_b32_e32 v4, 3, v14
	v_lshlrev_b32_e32 v5, 3, v18
	s_mov_b32 s3, 0
                                        ; implicit-def: $sgpr4
	s_delay_alu instid0(VALU_DEP_1)
	v_add3_u32 v4, v12, v4, v5
	s_branch .LBB4_84
.LBB4_82:                               ;   in Loop: Header=BB4_84 Depth=1
	s_or_b32 exec_lo, exec_lo, s7
	s_delay_alu instid0(SALU_CYCLE_1) | instskip(SKIP_1) | instid1(SALU_CYCLE_1)
	s_and_not1_b32 s1, s4, exec_lo
	s_and_b32 s4, s6, exec_lo
	s_or_b32 s4, s1, s4
.LBB4_83:                               ;   in Loop: Header=BB4_84 Depth=1
	s_or_b32 exec_lo, exec_lo, s5
	v_dual_add_nc_u32 v6, 1, v5 :: v_dual_cndmask_b32 v3, v3, v5, s4
	s_delay_alu instid0(VALU_DEP_1) | instskip(NEXT) | instid1(VALU_DEP_1)
	v_cndmask_b32_e64 v17, v6, v17, s4
	v_cmp_ge_i32_e64 s1, v17, v3
	s_or_b32 s3, s1, s3
	s_delay_alu instid0(SALU_CYCLE_1)
	s_and_not1_b32 exec_lo, exec_lo, s3
	s_cbranch_execz .LBB4_87
.LBB4_84:                               ; =>This Inner Loop Header: Depth=1
	v_sub_nc_u32_e32 v5, v3, v17
	s_or_b32 s4, s4, exec_lo
	s_mov_b32 s5, exec_lo
	s_delay_alu instid0(VALU_DEP_1) | instskip(NEXT) | instid1(VALU_DEP_1)
	v_lshrrev_b32_e32 v5, 1, v5
	v_add_nc_u32_e32 v5, v5, v17
	s_delay_alu instid0(VALU_DEP_1) | instskip(SKIP_1) | instid1(VALU_DEP_2)
	v_not_b32_e32 v7, v5
	v_lshl_add_u32 v6, v5, 3, v2
	v_lshl_add_u32 v7, v7, 3, v4
	ds_load_b32 v8, v6
	ds_load_b32 v9, v7
	s_wait_dscnt 0x0
	v_cmpx_nlt_f32_e32 v9, v8
	s_cbranch_execz .LBB4_83
; %bb.85:                               ;   in Loop: Header=BB4_84 Depth=1
	s_mov_b32 s6, 0
	s_mov_b32 s7, exec_lo
	v_cmpx_eq_f32_e32 v9, v8
	s_cbranch_execz .LBB4_82
; %bb.86:                               ;   in Loop: Header=BB4_84 Depth=1
	ds_load_b32 v7, v7 offset:4
	ds_load_b32 v6, v6 offset:4
	s_wait_dscnt 0x0
	v_cmp_lt_f32_e64 s1, v7, v6
	s_and_b32 s6, s1, exec_lo
	s_branch .LBB4_82
.LBB4_87:
	s_or_b32 exec_lo, exec_lo, s3
.LBB4_88:
	s_delay_alu instid0(SALU_CYCLE_1) | instskip(SKIP_2) | instid1(VALU_DEP_2)
	s_or_b32 exec_lo, exec_lo, s2
	v_add_nc_u32_e32 v3, v14, v18
	v_lshl_add_u32 v8, v17, 3, v2
	v_sub_nc_u32_e32 v18, v3, v17
	s_delay_alu instid0(VALU_DEP_1) | instskip(SKIP_4) | instid1(SALU_CYCLE_1)
	v_lshl_add_u32 v19, v18, 3, v12
	v_cmp_le_i32_e64 s1, v15, v18
	ds_load_b64 v[2:3], v8
	ds_load_b64 v[4:5], v19
	s_and_saveexec_b32 s2, s1
	s_xor_b32 s1, exec_lo, s2
	s_delay_alu instid0(SALU_CYCLE_1)
	s_or_saveexec_b32 s4, s1
	v_add_nc_u32_e32 v16, v17, v16
	s_mov_b32 s3, 0
	s_xor_b32 exec_lo, exec_lo, s4
	s_cbranch_execz .LBB4_94
; %bb.89:
	s_delay_alu instid0(VALU_DEP_1)
	v_cmp_gt_i32_e64 s1, v14, v16
	s_wait_dscnt 0x0
	v_cmp_nlt_f32_e64 s2, v4, v2
	s_and_b32 s3, s1, s2
	s_mov_b32 s1, -1
	s_and_saveexec_b32 s2, s3
	s_cbranch_execz .LBB4_93
; %bb.90:
	s_mov_b32 s3, 0
	s_mov_b32 s5, exec_lo
	v_cmpx_eq_f32_e32 v4, v2
; %bb.91:
	v_cmp_lt_f32_e64 s1, v5, v3
	s_and_b32 s3, s1, exec_lo
; %bb.92:
	s_or_b32 exec_lo, exec_lo, s5
	s_delay_alu instid0(SALU_CYCLE_1)
	s_or_not1_b32 s1, s3, exec_lo
.LBB4_93:
	s_or_b32 exec_lo, exec_lo, s2
	s_delay_alu instid0(SALU_CYCLE_1)
	s_and_b32 s3, s1, exec_lo
.LBB4_94:
	s_or_b32 exec_lo, exec_lo, s4
	s_xor_b32 s1, s3, -1
                                        ; implicit-def: $vgpr6_vgpr7
	s_delay_alu instid0(SALU_CYCLE_1) | instskip(NEXT) | instid1(SALU_CYCLE_1)
	s_and_saveexec_b32 s2, s1
	s_xor_b32 s1, exec_lo, s2
; %bb.95:
	ds_load_b64 v[6:7], v8 offset:8
                                        ; implicit-def: $vgpr19
; %bb.96:
	s_or_saveexec_b32 s1, s1
	s_wait_dscnt 0x0
	v_mov_b64_e32 v[8:9], v[4:5]
	s_xor_b32 exec_lo, exec_lo, s1
; %bb.97:
	ds_load_b64 v[8:9], v19 offset:8
	v_mov_b64_e32 v[6:7], v[2:3]
; %bb.98:
	s_or_b32 exec_lo, exec_lo, s1
	v_add_nc_u32_e32 v17, 1, v18
	s_mov_b32 s2, 0
	s_mov_b32 s4, exec_lo
	s_delay_alu instid0(VALU_DEP_1) | instskip(NEXT) | instid1(VALU_DEP_1)
	v_cndmask_b32_e64 v17, v18, v17, s3
	v_cmpx_lt_i32_e64 v17, v15
	s_cbranch_execz .LBB4_104
; %bb.99:
	v_add_nc_u32_e32 v15, 1, v16
	s_wait_dscnt 0x0
	v_cmp_nlt_f32_e64 s1, v8, v6
	s_delay_alu instid0(VALU_DEP_2) | instskip(NEXT) | instid1(VALU_DEP_1)
	v_cndmask_b32_e64 v15, v15, v16, s3
	v_cmp_lt_i32_e64 s2, v15, v14
	s_and_b32 s5, s2, s1
	s_mov_b32 s1, -1
	s_and_saveexec_b32 s2, s5
	s_cbranch_execz .LBB4_103
; %bb.100:
	s_mov_b32 s5, 0
	s_mov_b32 s6, exec_lo
	v_cmpx_eq_f32_e32 v8, v6
; %bb.101:
	v_cmp_lt_f32_e64 s1, v9, v7
	s_and_b32 s5, s1, exec_lo
; %bb.102:
	s_or_b32 exec_lo, exec_lo, s6
	s_delay_alu instid0(SALU_CYCLE_1)
	s_or_not1_b32 s1, s5, exec_lo
.LBB4_103:
	s_or_b32 exec_lo, exec_lo, s2
	s_delay_alu instid0(SALU_CYCLE_1)
	s_and_b32 s2, s1, exec_lo
.LBB4_104:
	s_or_b32 exec_lo, exec_lo, s4
	v_min_i32_e32 v11, v10, v11
	s_wait_dscnt 0x0
	v_dual_cndmask_b32 v7, v7, v9, s2 :: v_dual_min_i32 v16, 0, v10
	; wave barrier
	v_cndmask_b32_e64 v5, v3, v5, s3
	s_delay_alu instid0(VALU_DEP_2) | instskip(SKIP_2) | instid1(VALU_DEP_2)
	v_add_min_i32_e64 v14, v16, 32, v10
	v_cndmask_b32_e64 v6, v6, v8, s2
	s_mov_b32 s2, exec_lo
	v_add_min_i32_e64 v15, v14, 32, v10
	s_delay_alu instid0(VALU_DEP_1) | instskip(NEXT) | instid1(VALU_DEP_1)
	v_sub_nc_u32_e32 v10, v15, v14
	v_dual_sub_nc_u32 v17, v11, v10 :: v_dual_sub_nc_u32 v18, v14, v16
	v_cmp_ge_i32_e64 s1, v11, v10
	v_cndmask_b32_e64 v4, v2, v4, s3
	v_lshl_add_u32 v2, v16, 3, v12
	s_delay_alu instid0(VALU_DEP_3)
	v_dual_cndmask_b32 v10, 0, v17, s1 :: v_dual_min_i32 v3, v11, v18
	ds_store_2addr_b64 v13, v[4:5], v[6:7] offset1:1
	; wave barrier
	v_cmpx_lt_i32_e64 v10, v3
	s_cbranch_execz .LBB4_112
; %bb.105:
	v_dual_lshlrev_b32 v4, 3, v14 :: v_dual_lshlrev_b32 v5, 3, v11
	s_mov_b32 s3, 0
                                        ; implicit-def: $sgpr4
	s_delay_alu instid0(VALU_DEP_1)
	v_add3_u32 v4, v12, v4, v5
	s_branch .LBB4_108
.LBB4_106:                              ;   in Loop: Header=BB4_108 Depth=1
	s_or_b32 exec_lo, exec_lo, s7
	s_delay_alu instid0(SALU_CYCLE_1) | instskip(SKIP_1) | instid1(SALU_CYCLE_1)
	s_and_not1_b32 s1, s4, exec_lo
	s_and_b32 s4, s6, exec_lo
	s_or_b32 s4, s1, s4
.LBB4_107:                              ;   in Loop: Header=BB4_108 Depth=1
	s_or_b32 exec_lo, exec_lo, s5
	v_dual_add_nc_u32 v6, 1, v5 :: v_dual_cndmask_b32 v3, v3, v5, s4
	s_delay_alu instid0(VALU_DEP_1) | instskip(NEXT) | instid1(VALU_DEP_1)
	v_cndmask_b32_e64 v10, v6, v10, s4
	v_cmp_ge_i32_e64 s1, v10, v3
	s_or_b32 s3, s1, s3
	s_delay_alu instid0(SALU_CYCLE_1)
	s_and_not1_b32 exec_lo, exec_lo, s3
	s_cbranch_execz .LBB4_111
.LBB4_108:                              ; =>This Inner Loop Header: Depth=1
	v_sub_nc_u32_e32 v5, v3, v10
	s_or_b32 s4, s4, exec_lo
	s_mov_b32 s5, exec_lo
	s_delay_alu instid0(VALU_DEP_1) | instskip(NEXT) | instid1(VALU_DEP_1)
	v_lshrrev_b32_e32 v5, 1, v5
	v_add_nc_u32_e32 v5, v5, v10
	s_delay_alu instid0(VALU_DEP_1) | instskip(SKIP_1) | instid1(VALU_DEP_2)
	v_not_b32_e32 v7, v5
	v_lshl_add_u32 v6, v5, 3, v2
	v_lshl_add_u32 v7, v7, 3, v4
	ds_load_b32 v8, v6
	ds_load_b32 v9, v7
	s_wait_dscnt 0x0
	v_cmpx_nlt_f32_e32 v9, v8
	s_cbranch_execz .LBB4_107
; %bb.109:                              ;   in Loop: Header=BB4_108 Depth=1
	s_mov_b32 s6, 0
	s_mov_b32 s7, exec_lo
	v_cmpx_eq_f32_e32 v9, v8
	s_cbranch_execz .LBB4_106
; %bb.110:                              ;   in Loop: Header=BB4_108 Depth=1
	ds_load_b32 v7, v7 offset:4
	ds_load_b32 v6, v6 offset:4
	s_wait_dscnt 0x0
	v_cmp_lt_f32_e64 s1, v7, v6
	s_and_b32 s6, s1, exec_lo
	s_branch .LBB4_106
.LBB4_111:
	s_or_b32 exec_lo, exec_lo, s3
.LBB4_112:
	s_delay_alu instid0(SALU_CYCLE_1) | instskip(SKIP_2) | instid1(VALU_DEP_2)
	s_or_b32 exec_lo, exec_lo, s2
	v_add_nc_u32_e32 v3, v11, v14
	v_lshl_add_u32 v8, v10, 3, v2
	v_sub_nc_u32_e32 v11, v3, v10
	s_delay_alu instid0(VALU_DEP_1) | instskip(SKIP_4) | instid1(SALU_CYCLE_1)
	v_lshl_add_u32 v12, v11, 3, v12
	v_cmp_le_i32_e64 s1, v15, v11
	ds_load_b64 v[2:3], v8
	ds_load_b64 v[4:5], v12
	s_and_saveexec_b32 s2, s1
	s_xor_b32 s1, exec_lo, s2
	s_delay_alu instid0(SALU_CYCLE_1)
	s_or_saveexec_b32 s4, s1
	v_add_nc_u32_e32 v10, v10, v16
	s_mov_b32 s3, 0
	s_xor_b32 exec_lo, exec_lo, s4
	s_cbranch_execz .LBB4_118
; %bb.113:
	s_delay_alu instid0(VALU_DEP_1)
	v_cmp_gt_i32_e64 s1, v14, v10
	s_wait_dscnt 0x0
	v_cmp_nlt_f32_e64 s2, v4, v2
	s_and_b32 s3, s1, s2
	s_mov_b32 s1, -1
	s_and_saveexec_b32 s2, s3
	s_cbranch_execz .LBB4_117
; %bb.114:
	s_mov_b32 s3, 0
	s_mov_b32 s5, exec_lo
	v_cmpx_eq_f32_e32 v4, v2
; %bb.115:
	v_cmp_lt_f32_e64 s1, v5, v3
	s_and_b32 s3, s1, exec_lo
; %bb.116:
	s_or_b32 exec_lo, exec_lo, s5
	s_delay_alu instid0(SALU_CYCLE_1)
	s_or_not1_b32 s1, s3, exec_lo
.LBB4_117:
	s_or_b32 exec_lo, exec_lo, s2
	s_delay_alu instid0(SALU_CYCLE_1)
	s_and_b32 s3, s1, exec_lo
.LBB4_118:
	s_or_b32 exec_lo, exec_lo, s4
	s_xor_b32 s1, s3, -1
                                        ; implicit-def: $vgpr6_vgpr7
	s_delay_alu instid0(SALU_CYCLE_1) | instskip(NEXT) | instid1(SALU_CYCLE_1)
	s_and_saveexec_b32 s2, s1
	s_xor_b32 s1, exec_lo, s2
; %bb.119:
	ds_load_b64 v[6:7], v8 offset:8
                                        ; implicit-def: $vgpr12
; %bb.120:
	s_or_saveexec_b32 s1, s1
	s_wait_dscnt 0x0
	v_mov_b64_e32 v[8:9], v[4:5]
	s_xor_b32 exec_lo, exec_lo, s1
; %bb.121:
	ds_load_b64 v[8:9], v12 offset:8
	v_mov_b64_e32 v[6:7], v[2:3]
; %bb.122:
	s_or_b32 exec_lo, exec_lo, s1
	v_add_nc_u32_e32 v12, 1, v11
	s_mov_b32 s2, 0
	s_mov_b32 s4, exec_lo
	s_delay_alu instid0(VALU_DEP_1) | instskip(NEXT) | instid1(VALU_DEP_1)
	v_cndmask_b32_e64 v11, v11, v12, s3
	v_cmpx_lt_i32_e64 v11, v15
	s_cbranch_execnz .LBB4_126
; %bb.123:
	s_or_b32 exec_lo, exec_lo, s4
	s_and_saveexec_b32 s1, vcc_lo
	s_cbranch_execnz .LBB4_131
.LBB4_124:
	s_or_b32 exec_lo, exec_lo, s1
	s_and_saveexec_b32 s1, s0
	s_cbranch_execnz .LBB4_132
.LBB4_125:
	s_endpgm
.LBB4_126:
	v_add_nc_u32_e32 v11, 1, v10
	s_wait_dscnt 0x0
	v_cmp_nlt_f32_e64 s1, v8, v6
	s_delay_alu instid0(VALU_DEP_2) | instskip(NEXT) | instid1(VALU_DEP_1)
	v_cndmask_b32_e64 v10, v11, v10, s3
	v_cmp_lt_i32_e64 s2, v10, v14
	s_and_b32 s5, s2, s1
	s_mov_b32 s1, -1
	s_and_saveexec_b32 s2, s5
	s_cbranch_execz .LBB4_130
; %bb.127:
	s_mov_b32 s5, 0
	s_mov_b32 s6, exec_lo
	v_cmpx_eq_f32_e32 v8, v6
; %bb.128:
	v_cmp_lt_f32_e64 s1, v9, v7
	s_and_b32 s5, s1, exec_lo
; %bb.129:
	s_or_b32 exec_lo, exec_lo, s6
	s_delay_alu instid0(SALU_CYCLE_1)
	s_or_not1_b32 s1, s5, exec_lo
.LBB4_130:
	s_or_b32 exec_lo, exec_lo, s2
	s_delay_alu instid0(SALU_CYCLE_1)
	s_and_b32 s2, s1, exec_lo
	s_or_b32 exec_lo, exec_lo, s4
	s_and_saveexec_b32 s1, vcc_lo
	s_cbranch_execz .LBB4_124
.LBB4_131:
	v_dual_cndmask_b32 v2, v2, v4, s3 :: v_dual_cndmask_b32 v3, v3, v5, s3
	global_store_b64 v[0:1], v[2:3], off
	s_wait_xcnt 0x0
	s_or_b32 exec_lo, exec_lo, s1
	s_and_saveexec_b32 s1, s0
	s_cbranch_execz .LBB4_125
.LBB4_132:
	s_wait_dscnt 0x0
	v_dual_cndmask_b32 v3, v7, v9, s2 :: v_dual_cndmask_b32 v2, v6, v8, s2
	global_store_b64 v[0:1], v[2:3], off offset:8
	s_endpgm
	.section	.rodata,"a",@progbits
	.p2align	6, 0x0
	.amdhsa_kernel _Z19sort_keys_segmentedILj256ELj32ELj2ELb0EN10test_utils16custom_test_typeIfEENS0_4lessEEvPT3_PKjT4_
		.amdhsa_group_segment_fixed_size 4160
		.amdhsa_private_segment_fixed_size 0
		.amdhsa_kernarg_size 20
		.amdhsa_user_sgpr_count 2
		.amdhsa_user_sgpr_dispatch_ptr 0
		.amdhsa_user_sgpr_queue_ptr 0
		.amdhsa_user_sgpr_kernarg_segment_ptr 1
		.amdhsa_user_sgpr_dispatch_id 0
		.amdhsa_user_sgpr_kernarg_preload_length 0
		.amdhsa_user_sgpr_kernarg_preload_offset 0
		.amdhsa_user_sgpr_private_segment_size 0
		.amdhsa_wavefront_size32 1
		.amdhsa_uses_dynamic_stack 0
		.amdhsa_enable_private_segment 0
		.amdhsa_system_sgpr_workgroup_id_x 1
		.amdhsa_system_sgpr_workgroup_id_y 0
		.amdhsa_system_sgpr_workgroup_id_z 0
		.amdhsa_system_sgpr_workgroup_info 0
		.amdhsa_system_vgpr_workitem_id 0
		.amdhsa_next_free_vgpr 21
		.amdhsa_next_free_sgpr 8
		.amdhsa_named_barrier_count 0
		.amdhsa_reserve_vcc 1
		.amdhsa_float_round_mode_32 0
		.amdhsa_float_round_mode_16_64 0
		.amdhsa_float_denorm_mode_32 3
		.amdhsa_float_denorm_mode_16_64 3
		.amdhsa_fp16_overflow 0
		.amdhsa_memory_ordered 1
		.amdhsa_forward_progress 1
		.amdhsa_inst_pref_size 34
		.amdhsa_round_robin_scheduling 0
		.amdhsa_exception_fp_ieee_invalid_op 0
		.amdhsa_exception_fp_denorm_src 0
		.amdhsa_exception_fp_ieee_div_zero 0
		.amdhsa_exception_fp_ieee_overflow 0
		.amdhsa_exception_fp_ieee_underflow 0
		.amdhsa_exception_fp_ieee_inexact 0
		.amdhsa_exception_int_div_zero 0
	.end_amdhsa_kernel
	.section	.text._Z19sort_keys_segmentedILj256ELj32ELj2ELb0EN10test_utils16custom_test_typeIfEENS0_4lessEEvPT3_PKjT4_,"axG",@progbits,_Z19sort_keys_segmentedILj256ELj32ELj2ELb0EN10test_utils16custom_test_typeIfEENS0_4lessEEvPT3_PKjT4_,comdat
.Lfunc_end4:
	.size	_Z19sort_keys_segmentedILj256ELj32ELj2ELb0EN10test_utils16custom_test_typeIfEENS0_4lessEEvPT3_PKjT4_, .Lfunc_end4-_Z19sort_keys_segmentedILj256ELj32ELj2ELb0EN10test_utils16custom_test_typeIfEENS0_4lessEEvPT3_PKjT4_
                                        ; -- End function
	.set _Z19sort_keys_segmentedILj256ELj32ELj2ELb0EN10test_utils16custom_test_typeIfEENS0_4lessEEvPT3_PKjT4_.num_vgpr, 21
	.set _Z19sort_keys_segmentedILj256ELj32ELj2ELb0EN10test_utils16custom_test_typeIfEENS0_4lessEEvPT3_PKjT4_.num_agpr, 0
	.set _Z19sort_keys_segmentedILj256ELj32ELj2ELb0EN10test_utils16custom_test_typeIfEENS0_4lessEEvPT3_PKjT4_.numbered_sgpr, 8
	.set _Z19sort_keys_segmentedILj256ELj32ELj2ELb0EN10test_utils16custom_test_typeIfEENS0_4lessEEvPT3_PKjT4_.num_named_barrier, 0
	.set _Z19sort_keys_segmentedILj256ELj32ELj2ELb0EN10test_utils16custom_test_typeIfEENS0_4lessEEvPT3_PKjT4_.private_seg_size, 0
	.set _Z19sort_keys_segmentedILj256ELj32ELj2ELb0EN10test_utils16custom_test_typeIfEENS0_4lessEEvPT3_PKjT4_.uses_vcc, 1
	.set _Z19sort_keys_segmentedILj256ELj32ELj2ELb0EN10test_utils16custom_test_typeIfEENS0_4lessEEvPT3_PKjT4_.uses_flat_scratch, 0
	.set _Z19sort_keys_segmentedILj256ELj32ELj2ELb0EN10test_utils16custom_test_typeIfEENS0_4lessEEvPT3_PKjT4_.has_dyn_sized_stack, 0
	.set _Z19sort_keys_segmentedILj256ELj32ELj2ELb0EN10test_utils16custom_test_typeIfEENS0_4lessEEvPT3_PKjT4_.has_recursion, 0
	.set _Z19sort_keys_segmentedILj256ELj32ELj2ELb0EN10test_utils16custom_test_typeIfEENS0_4lessEEvPT3_PKjT4_.has_indirect_call, 0
	.section	.AMDGPU.csdata,"",@progbits
; Kernel info:
; codeLenInByte = 4300
; TotalNumSgprs: 10
; NumVgprs: 21
; ScratchSize: 0
; MemoryBound: 0
; FloatMode: 240
; IeeeMode: 1
; LDSByteSize: 4160 bytes/workgroup (compile time only)
; SGPRBlocks: 0
; VGPRBlocks: 1
; NumSGPRsForWavesPerEU: 10
; NumVGPRsForWavesPerEU: 21
; NamedBarCnt: 0
; Occupancy: 16
; WaveLimiterHint : 0
; COMPUTE_PGM_RSRC2:SCRATCH_EN: 0
; COMPUTE_PGM_RSRC2:USER_SGPR: 2
; COMPUTE_PGM_RSRC2:TRAP_HANDLER: 0
; COMPUTE_PGM_RSRC2:TGID_X_EN: 1
; COMPUTE_PGM_RSRC2:TGID_Y_EN: 0
; COMPUTE_PGM_RSRC2:TGID_Z_EN: 0
; COMPUTE_PGM_RSRC2:TIDIG_COMP_CNT: 0
	.section	.text._Z19sort_keys_segmentedILj32ELj32ELj1ELb0E12hip_bfloat16N10test_utils4lessEEvPT3_PKjT4_,"axG",@progbits,_Z19sort_keys_segmentedILj32ELj32ELj1ELb0E12hip_bfloat16N10test_utils4lessEEvPT3_PKjT4_,comdat
	.protected	_Z19sort_keys_segmentedILj32ELj32ELj1ELb0E12hip_bfloat16N10test_utils4lessEEvPT3_PKjT4_ ; -- Begin function _Z19sort_keys_segmentedILj32ELj32ELj1ELb0E12hip_bfloat16N10test_utils4lessEEvPT3_PKjT4_
	.globl	_Z19sort_keys_segmentedILj32ELj32ELj1ELb0E12hip_bfloat16N10test_utils4lessEEvPT3_PKjT4_
	.p2align	8
	.type	_Z19sort_keys_segmentedILj32ELj32ELj1ELb0E12hip_bfloat16N10test_utils4lessEEvPT3_PKjT4_,@function
_Z19sort_keys_segmentedILj32ELj32ELj1ELb0E12hip_bfloat16N10test_utils4lessEEvPT3_PKjT4_: ; @_Z19sort_keys_segmentedILj32ELj32ELj1ELb0E12hip_bfloat16N10test_utils4lessEEvPT3_PKjT4_
; %bb.0:
	s_load_b128 s[0:3], s[0:1], 0x0
	s_bfe_u32 s4, ttmp6, 0x4000c
	s_and_b32 s5, ttmp6, 15
	s_add_co_i32 s4, s4, 1
	s_getreg_b32 s6, hwreg(HW_REG_IB_STS2, 6, 4)
	s_mul_i32 s4, ttmp9, s4
	v_mbcnt_lo_u32_b32 v3, -1, 0
	s_add_co_i32 s5, s5, s4
	s_cmp_eq_u32 s6, 0
                                        ; implicit-def: $vgpr10
	v_mov_b32_e32 v1, 0
	s_cselect_b32 s4, ttmp9, s5
	s_delay_alu instid0(SALU_CYCLE_1)
	v_mov_b32_e32 v0, s4
	s_wait_kmcnt 0x0
	global_load_b32 v2, v0, s[2:3] scale_offset
	s_wait_xcnt 0x0
	s_mov_b32 s3, 0
	s_lshl_b32 s2, s4, 5
	v_lshlrev_b32_e32 v0, 1, v3
	s_lshl_b64 s[2:3], s[2:3], 1
	s_delay_alu instid0(SALU_CYCLE_1)
	s_add_nc_u64 s[4:5], s[0:1], s[2:3]
	s_wait_loadcnt 0x0
	v_cmp_lt_u32_e32 vcc_lo, v3, v2
	s_and_saveexec_b32 s0, vcc_lo
	s_cbranch_execz .LBB5_2
; %bb.1:
	v_add_nc_u64_e32 v[4:5], s[4:5], v[0:1]
	global_load_u16 v10, v[4:5], off
.LBB5_2:
	s_wait_xcnt 0x0
	s_or_b32 exec_lo, exec_lo, s0
	v_and_b32_e32 v1, 30, v3
	s_mov_b32 s1, exec_lo
	; wave barrier
	s_wait_loadcnt 0x0
	ds_store_b16 v0, v10
	v_min_i32_e32 v8, v2, v1
	; wave barrier
	s_delay_alu instid0(VALU_DEP_1) | instskip(SKIP_1) | instid1(VALU_DEP_2)
	v_add_min_i32_e64 v6, v8, 1, v2
	v_and_b32_e32 v1, 1, v3
	v_add_min_i32_e64 v4, v6, 1, v2
	s_delay_alu instid0(VALU_DEP_1) | instskip(NEXT) | instid1(VALU_DEP_1)
	v_dual_sub_nc_u32 v5, v4, v6 :: v_dual_min_i32 v1, v2, v1
	v_sub_nc_u32_e32 v7, v1, v5
	v_cmp_ge_i32_e64 s0, v1, v5
	s_delay_alu instid0(VALU_DEP_1) | instskip(NEXT) | instid1(VALU_DEP_1)
	v_dual_cndmask_b32 v9, 0, v7, s0 :: v_dual_sub_nc_u32 v11, v6, v8
	v_dual_lshlrev_b32 v5, 1, v8 :: v_dual_min_i32 v7, v1, v11
	s_delay_alu instid0(VALU_DEP_1)
	v_cmpx_lt_i32_e64 v9, v7
	s_cbranch_execz .LBB5_6
; %bb.3:
	v_lshlrev_b32_e32 v10, 1, v1
	s_mov_b32 s2, 0
	s_delay_alu instid0(VALU_DEP_1)
	v_lshl_add_u32 v10, v6, 1, v10
.LBB5_4:                                ; =>This Inner Loop Header: Depth=1
	v_sub_nc_u32_e32 v11, v7, v9
	s_delay_alu instid0(VALU_DEP_1) | instskip(NEXT) | instid1(VALU_DEP_1)
	v_lshrrev_b32_e32 v11, 1, v11
	v_add_nc_u32_e32 v11, v11, v9
	s_delay_alu instid0(VALU_DEP_1) | instskip(SKIP_1) | instid1(VALU_DEP_2)
	v_not_b32_e32 v12, v11
	v_lshl_add_u32 v13, v11, 1, v5
	v_lshl_add_u32 v12, v12, 1, v10
	ds_load_u16 v13, v13
	ds_load_u16 v12, v12
	s_wait_dscnt 0x0
	v_dual_lshlrev_b32 v13, 16, v13 :: v_dual_lshlrev_b32 v12, 16, v12
	s_delay_alu instid0(VALU_DEP_1) | instskip(SKIP_1) | instid1(VALU_DEP_1)
	v_cmp_lt_f32_e64 s0, v12, v13
	v_add_nc_u32_e32 v14, 1, v11
	v_dual_cndmask_b32 v9, v14, v9, s0 :: v_dual_cndmask_b32 v7, v7, v11, s0
	s_delay_alu instid0(VALU_DEP_1) | instskip(SKIP_1) | instid1(SALU_CYCLE_1)
	v_cmp_ge_i32_e64 s0, v9, v7
	s_or_b32 s2, s0, s2
	s_and_not1_b32 exec_lo, exec_lo, s2
	s_cbranch_execnz .LBB5_4
; %bb.5:
	s_or_b32 exec_lo, exec_lo, s2
.LBB5_6:
	s_delay_alu instid0(SALU_CYCLE_1) | instskip(SKIP_2) | instid1(VALU_DEP_1)
	s_or_b32 exec_lo, exec_lo, s1
	v_add_nc_u32_e32 v1, v6, v1
	s_mov_b32 s3, 0
	v_sub_nc_u32_e32 v10, v1, v9
	v_lshl_add_u32 v1, v9, 1, v5
	s_delay_alu instid0(VALU_DEP_2)
	v_dual_add_nc_u32 v9, v9, v8 :: v_dual_lshlrev_b32 v5, 1, v10
	ds_load_u16 v11, v1
	ds_load_u16 v12, v5
	v_and_b32_e32 v1, 28, v3
	v_and_b32_e32 v13, 3, v3
	v_cmp_gt_i32_e64 s2, v4, v10
	; wave barrier
	s_delay_alu instid0(VALU_DEP_3) | instskip(SKIP_1) | instid1(VALU_DEP_2)
	v_min_i32_e32 v7, v2, v1
	v_cmp_le_i32_e64 s0, v6, v9
	v_add_min_i32_e64 v5, v7, 2, v2
	v_lshlrev_b32_e32 v4, 1, v7
	s_delay_alu instid0(VALU_DEP_2) | instskip(SKIP_3) | instid1(VALU_DEP_3)
	v_add_min_i32_e64 v1, v5, 2, v2
	s_wait_dscnt 0x0
	v_dual_lshlrev_b32 v15, 16, v12 :: v_dual_lshlrev_b32 v14, 16, v11
	v_dual_sub_nc_u32 v6, v5, v7 :: v_dual_min_i32 v8, v2, v13
	v_sub_nc_u32_e32 v13, v1, v5
	s_delay_alu instid0(VALU_DEP_3) | instskip(NEXT) | instid1(VALU_DEP_2)
	v_cmp_lt_f32_e64 s1, v15, v14
	v_dual_sub_nc_u32 v9, v8, v13 :: v_dual_min_i32 v6, v8, v6
	s_or_b32 s1, s0, s1
	v_cmp_ge_i32_e64 s0, v8, v13
	s_delay_alu instid0(VALU_DEP_1)
	v_cndmask_b32_e64 v9, 0, v9, s0
	s_and_b32 s0, s2, s1
	s_mov_b32 s1, exec_lo
	v_cndmask_b32_e64 v10, v11, v12, s0
	ds_store_b16 v0, v10
	; wave barrier
	v_cmpx_lt_i32_e64 v9, v6
	s_cbranch_execz .LBB5_10
; %bb.7:
	v_lshlrev_b32_e32 v10, 1, v8
	s_delay_alu instid0(VALU_DEP_1)
	v_lshl_add_u32 v10, v5, 1, v10
.LBB5_8:                                ; =>This Inner Loop Header: Depth=1
	v_sub_nc_u32_e32 v11, v6, v9
	s_delay_alu instid0(VALU_DEP_1) | instskip(NEXT) | instid1(VALU_DEP_1)
	v_lshrrev_b32_e32 v11, 1, v11
	v_add_nc_u32_e32 v11, v11, v9
	s_delay_alu instid0(VALU_DEP_1) | instskip(SKIP_1) | instid1(VALU_DEP_2)
	v_not_b32_e32 v12, v11
	v_lshl_add_u32 v13, v11, 1, v4
	v_lshl_add_u32 v12, v12, 1, v10
	ds_load_u16 v13, v13
	ds_load_u16 v12, v12
	s_wait_dscnt 0x0
	v_dual_lshlrev_b32 v13, 16, v13 :: v_dual_lshlrev_b32 v12, 16, v12
	s_delay_alu instid0(VALU_DEP_1) | instskip(SKIP_1) | instid1(VALU_DEP_1)
	v_cmp_lt_f32_e64 s0, v12, v13
	v_add_nc_u32_e32 v14, 1, v11
	v_cndmask_b32_e64 v9, v14, v9, s0
	v_cndmask_b32_e64 v6, v6, v11, s0
	s_delay_alu instid0(VALU_DEP_1) | instskip(SKIP_1) | instid1(SALU_CYCLE_1)
	v_cmp_ge_i32_e64 s0, v9, v6
	s_or_b32 s3, s0, s3
	s_and_not1_b32 exec_lo, exec_lo, s3
	s_cbranch_execnz .LBB5_8
; %bb.9:
	s_or_b32 exec_lo, exec_lo, s3
.LBB5_10:
	s_delay_alu instid0(SALU_CYCLE_1) | instskip(SKIP_3) | instid1(VALU_DEP_2)
	s_or_b32 exec_lo, exec_lo, s1
	v_add_nc_u32_e32 v6, v5, v8
	v_lshl_add_u32 v4, v9, 1, v4
	s_mov_b32 s3, 0
	v_dual_sub_nc_u32 v10, v6, v9 :: v_dual_bitop2_b32 v13, 7, v3 bitop3:0x40
	s_delay_alu instid0(VALU_DEP_1)
	v_lshlrev_b32_e32 v6, 1, v10
	v_cmp_gt_i32_e64 s2, v1, v10
	ds_load_u16 v11, v4
	ds_load_u16 v12, v6
	v_and_b32_e32 v4, 24, v3
	v_add_nc_u32_e32 v9, v9, v7
	; wave barrier
	v_min_i32_e32 v7, v2, v13
	s_delay_alu instid0(VALU_DEP_3) | instskip(NEXT) | instid1(VALU_DEP_1)
	v_min_i32_e32 v8, v2, v4
	v_add_min_i32_e64 v6, v8, 4, v2
	v_lshlrev_b32_e32 v1, 1, v8
	s_delay_alu instid0(VALU_DEP_2) | instskip(SKIP_2) | instid1(VALU_DEP_2)
	v_add_min_i32_e64 v4, v6, 4, v2
	s_wait_dscnt 0x0
	v_dual_lshlrev_b32 v14, 16, v11 :: v_dual_lshlrev_b32 v15, 16, v12
	v_sub_nc_u32_e32 v13, v4, v6
	v_cmp_le_i32_e64 s0, v5, v9
	v_sub_nc_u32_e32 v5, v6, v8
	s_delay_alu instid0(VALU_DEP_4) | instskip(NEXT) | instid1(VALU_DEP_4)
	v_cmp_lt_f32_e64 s1, v15, v14
	v_sub_nc_u32_e32 v9, v7, v13
	s_delay_alu instid0(VALU_DEP_3) | instskip(SKIP_2) | instid1(VALU_DEP_1)
	v_min_i32_e32 v5, v7, v5
	s_or_b32 s1, s0, s1
	v_cmp_ge_i32_e64 s0, v7, v13
	v_cndmask_b32_e64 v9, 0, v9, s0
	s_and_b32 s0, s2, s1
	s_mov_b32 s1, exec_lo
	v_cndmask_b32_e64 v10, v11, v12, s0
	ds_store_b16 v0, v10
	; wave barrier
	v_cmpx_lt_i32_e64 v9, v5
	s_cbranch_execz .LBB5_14
; %bb.11:
	v_lshlrev_b32_e32 v10, 1, v7
	s_delay_alu instid0(VALU_DEP_1)
	v_lshl_add_u32 v10, v6, 1, v10
.LBB5_12:                               ; =>This Inner Loop Header: Depth=1
	v_sub_nc_u32_e32 v11, v5, v9
	s_delay_alu instid0(VALU_DEP_1) | instskip(NEXT) | instid1(VALU_DEP_1)
	v_lshrrev_b32_e32 v11, 1, v11
	v_add_nc_u32_e32 v11, v11, v9
	s_delay_alu instid0(VALU_DEP_1) | instskip(SKIP_1) | instid1(VALU_DEP_2)
	v_not_b32_e32 v12, v11
	v_lshl_add_u32 v13, v11, 1, v1
	v_lshl_add_u32 v12, v12, 1, v10
	ds_load_u16 v13, v13
	ds_load_u16 v12, v12
	s_wait_dscnt 0x0
	v_dual_lshlrev_b32 v13, 16, v13 :: v_dual_lshlrev_b32 v12, 16, v12
	s_delay_alu instid0(VALU_DEP_1) | instskip(SKIP_1) | instid1(VALU_DEP_1)
	v_cmp_lt_f32_e64 s0, v12, v13
	v_add_nc_u32_e32 v14, 1, v11
	v_dual_cndmask_b32 v9, v14, v9, s0 :: v_dual_cndmask_b32 v5, v5, v11, s0
	s_delay_alu instid0(VALU_DEP_1) | instskip(SKIP_1) | instid1(SALU_CYCLE_1)
	v_cmp_ge_i32_e64 s0, v9, v5
	s_or_b32 s3, s0, s3
	s_and_not1_b32 exec_lo, exec_lo, s3
	s_cbranch_execnz .LBB5_12
; %bb.13:
	s_or_b32 exec_lo, exec_lo, s3
.LBB5_14:
	s_delay_alu instid0(SALU_CYCLE_1) | instskip(SKIP_3) | instid1(VALU_DEP_2)
	s_or_b32 exec_lo, exec_lo, s1
	v_add_nc_u32_e32 v5, v6, v7
	v_lshl_add_u32 v1, v9, 1, v1
	s_mov_b32 s3, 0
	v_sub_nc_u32_e32 v10, v5, v9
	s_delay_alu instid0(VALU_DEP_1) | instskip(NEXT) | instid1(VALU_DEP_1)
	v_dual_add_nc_u32 v9, v9, v8 :: v_dual_lshlrev_b32 v5, 1, v10
	v_cmp_le_i32_e64 s0, v6, v9
	ds_load_u16 v11, v1
	ds_load_u16 v12, v5
	v_and_b32_e32 v1, 16, v3
	v_and_b32_e32 v13, 15, v3
	v_cmp_gt_i32_e64 s2, v4, v10
	; wave barrier
	s_delay_alu instid0(VALU_DEP_3) | instskip(NEXT) | instid1(VALU_DEP_1)
	v_min_i32_e32 v7, v2, v1
	v_add_min_i32_e64 v5, v7, 8, v2
	v_lshlrev_b32_e32 v4, 1, v7
	s_delay_alu instid0(VALU_DEP_2) | instskip(SKIP_3) | instid1(VALU_DEP_3)
	v_add_min_i32_e64 v1, v5, 8, v2
	s_wait_dscnt 0x0
	v_dual_lshlrev_b32 v15, 16, v12 :: v_dual_lshlrev_b32 v14, 16, v11
	v_dual_sub_nc_u32 v6, v5, v7 :: v_dual_min_i32 v8, v2, v13
	v_sub_nc_u32_e32 v13, v1, v5
	s_delay_alu instid0(VALU_DEP_3) | instskip(NEXT) | instid1(VALU_DEP_2)
	v_cmp_lt_f32_e64 s1, v15, v14
	v_dual_sub_nc_u32 v9, v8, v13 :: v_dual_min_i32 v6, v8, v6
	s_or_b32 s1, s0, s1
	v_cmp_ge_i32_e64 s0, v8, v13
	s_delay_alu instid0(VALU_DEP_1)
	v_cndmask_b32_e64 v9, 0, v9, s0
	s_and_b32 s0, s2, s1
	s_mov_b32 s1, exec_lo
	v_cndmask_b32_e64 v10, v11, v12, s0
	ds_store_b16 v0, v10
	; wave barrier
	v_cmpx_lt_i32_e64 v9, v6
	s_cbranch_execz .LBB5_18
; %bb.15:
	v_lshlrev_b32_e32 v10, 1, v8
	s_delay_alu instid0(VALU_DEP_1)
	v_lshl_add_u32 v10, v5, 1, v10
.LBB5_16:                               ; =>This Inner Loop Header: Depth=1
	v_sub_nc_u32_e32 v11, v6, v9
	s_delay_alu instid0(VALU_DEP_1) | instskip(NEXT) | instid1(VALU_DEP_1)
	v_lshrrev_b32_e32 v11, 1, v11
	v_add_nc_u32_e32 v11, v11, v9
	s_delay_alu instid0(VALU_DEP_1) | instskip(SKIP_1) | instid1(VALU_DEP_2)
	v_not_b32_e32 v12, v11
	v_lshl_add_u32 v13, v11, 1, v4
	v_lshl_add_u32 v12, v12, 1, v10
	ds_load_u16 v13, v13
	ds_load_u16 v12, v12
	s_wait_dscnt 0x0
	v_dual_lshlrev_b32 v13, 16, v13 :: v_dual_lshlrev_b32 v12, 16, v12
	s_delay_alu instid0(VALU_DEP_1) | instskip(SKIP_1) | instid1(VALU_DEP_1)
	v_cmp_lt_f32_e64 s0, v12, v13
	v_add_nc_u32_e32 v14, 1, v11
	v_cndmask_b32_e64 v9, v14, v9, s0
	v_cndmask_b32_e64 v6, v6, v11, s0
	s_delay_alu instid0(VALU_DEP_1) | instskip(SKIP_1) | instid1(SALU_CYCLE_1)
	v_cmp_ge_i32_e64 s0, v9, v6
	s_or_b32 s3, s0, s3
	s_and_not1_b32 exec_lo, exec_lo, s3
	s_cbranch_execnz .LBB5_16
; %bb.17:
	s_or_b32 exec_lo, exec_lo, s3
.LBB5_18:
	s_delay_alu instid0(SALU_CYCLE_1) | instskip(SKIP_3) | instid1(VALU_DEP_2)
	s_or_b32 exec_lo, exec_lo, s1
	v_dual_add_nc_u32 v6, v5, v8 :: v_dual_min_i32 v8, 0, v2
	v_lshl_add_u32 v4, v9, 1, v4
	s_mov_b32 s3, 0
	v_dual_add_nc_u32 v7, v9, v7 :: v_dual_sub_nc_u32 v10, v6, v9
	s_delay_alu instid0(VALU_DEP_1) | instskip(NEXT) | instid1(VALU_DEP_2)
	v_cmp_le_i32_e64 s0, v5, v7
	v_lshlrev_b32_e32 v6, 1, v10
	v_cmp_gt_i32_e64 s2, v1, v10
	ds_load_u16 v11, v4
	ds_load_u16 v12, v6
	v_add_min_i32_e64 v6, v8, 16, v2
	; wave barrier
	s_delay_alu instid0(VALU_DEP_1) | instskip(SKIP_1) | instid1(VALU_DEP_2)
	v_add_min_i32_e64 v4, v6, 16, v2
	v_min_i32_e32 v2, v2, v3
	v_dual_sub_nc_u32 v5, v6, v8 :: v_dual_sub_nc_u32 v3, v4, v6
	s_delay_alu instid0(VALU_DEP_1) | instskip(SKIP_2) | instid1(VALU_DEP_1)
	v_dual_sub_nc_u32 v7, v2, v3 :: v_dual_min_i32 v5, v2, v5
	s_wait_dscnt 0x0
	v_dual_lshlrev_b32 v9, 16, v11 :: v_dual_lshlrev_b32 v13, 16, v12
	v_cmp_lt_f32_e64 s1, v13, v9
	s_or_b32 s1, s0, s1
	v_cmp_ge_i32_e64 s0, v2, v3
	s_delay_alu instid0(VALU_DEP_1)
	v_dual_lshlrev_b32 v3, 1, v8 :: v_dual_cndmask_b32 v1, 0, v7, s0
	s_and_b32 s0, s2, s1
	s_mov_b32 s1, exec_lo
	v_cndmask_b32_e64 v7, v11, v12, s0
	ds_store_b16 v0, v7
	; wave barrier
	v_cmpx_lt_i32_e64 v1, v5
	s_cbranch_execnz .LBB5_21
; %bb.19:
	s_or_b32 exec_lo, exec_lo, s1
	s_and_saveexec_b32 s0, vcc_lo
	s_cbranch_execnz .LBB5_24
.LBB5_20:
	s_endpgm
.LBB5_21:
	v_lshlrev_b32_e32 v7, 1, v2
	s_delay_alu instid0(VALU_DEP_1)
	v_lshl_add_u32 v7, v6, 1, v7
.LBB5_22:                               ; =>This Inner Loop Header: Depth=1
	v_sub_nc_u32_e32 v9, v5, v1
	s_delay_alu instid0(VALU_DEP_1) | instskip(NEXT) | instid1(VALU_DEP_1)
	v_lshrrev_b32_e32 v9, 1, v9
	v_add_nc_u32_e32 v9, v9, v1
	s_delay_alu instid0(VALU_DEP_1) | instskip(SKIP_1) | instid1(VALU_DEP_2)
	v_not_b32_e32 v10, v9
	v_lshl_add_u32 v11, v9, 1, v3
	v_lshl_add_u32 v10, v10, 1, v7
	ds_load_u16 v11, v11
	ds_load_u16 v10, v10
	s_wait_dscnt 0x0
	v_dual_lshlrev_b32 v11, 16, v11 :: v_dual_lshlrev_b32 v10, 16, v10
	s_delay_alu instid0(VALU_DEP_1) | instskip(SKIP_1) | instid1(VALU_DEP_1)
	v_cmp_lt_f32_e64 s0, v10, v11
	v_add_nc_u32_e32 v12, 1, v9
	v_cndmask_b32_e64 v1, v12, v1, s0
	v_cndmask_b32_e64 v5, v5, v9, s0
	s_delay_alu instid0(VALU_DEP_1) | instskip(SKIP_1) | instid1(SALU_CYCLE_1)
	v_cmp_ge_i32_e64 s0, v1, v5
	s_or_b32 s3, s0, s3
	s_and_not1_b32 exec_lo, exec_lo, s3
	s_cbranch_execnz .LBB5_22
; %bb.23:
	s_or_b32 exec_lo, exec_lo, s3
	s_delay_alu instid0(SALU_CYCLE_1)
	s_or_b32 exec_lo, exec_lo, s1
	s_and_saveexec_b32 s0, vcc_lo
	s_cbranch_execz .LBB5_20
.LBB5_24:
	v_add_nc_u32_e32 v2, v6, v2
	v_lshl_add_u32 v3, v1, 1, v3
	s_delay_alu instid0(VALU_DEP_2) | instskip(NEXT) | instid1(VALU_DEP_1)
	v_dual_sub_nc_u32 v2, v2, v1 :: v_dual_add_nc_u32 v1, v1, v8
	v_lshlrev_b32_e32 v5, 1, v2
	s_delay_alu instid0(VALU_DEP_2)
	v_cmp_le_i32_e32 vcc_lo, v6, v1
	v_mov_b32_e32 v1, 0
	ds_load_u16 v3, v3
	ds_load_u16 v5, v5
	v_add_nc_u64_e32 v[0:1], s[4:5], v[0:1]
	s_wait_dscnt 0x0
	v_dual_lshlrev_b32 v7, 16, v3 :: v_dual_lshlrev_b32 v8, 16, v5
	v_cmp_gt_i32_e64 s1, v4, v2
	s_delay_alu instid0(VALU_DEP_2) | instskip(SKIP_1) | instid1(SALU_CYCLE_1)
	v_cmp_lt_f32_e64 s0, v8, v7
	s_or_b32 s0, vcc_lo, s0
	s_and_b32 vcc_lo, s1, s0
	v_cndmask_b32_e32 v2, v3, v5, vcc_lo
	global_store_b16 v[0:1], v2, off
	s_endpgm
	.section	.rodata,"a",@progbits
	.p2align	6, 0x0
	.amdhsa_kernel _Z19sort_keys_segmentedILj32ELj32ELj1ELb0E12hip_bfloat16N10test_utils4lessEEvPT3_PKjT4_
		.amdhsa_group_segment_fixed_size 66
		.amdhsa_private_segment_fixed_size 0
		.amdhsa_kernarg_size 20
		.amdhsa_user_sgpr_count 2
		.amdhsa_user_sgpr_dispatch_ptr 0
		.amdhsa_user_sgpr_queue_ptr 0
		.amdhsa_user_sgpr_kernarg_segment_ptr 1
		.amdhsa_user_sgpr_dispatch_id 0
		.amdhsa_user_sgpr_kernarg_preload_length 0
		.amdhsa_user_sgpr_kernarg_preload_offset 0
		.amdhsa_user_sgpr_private_segment_size 0
		.amdhsa_wavefront_size32 1
		.amdhsa_uses_dynamic_stack 0
		.amdhsa_enable_private_segment 0
		.amdhsa_system_sgpr_workgroup_id_x 1
		.amdhsa_system_sgpr_workgroup_id_y 0
		.amdhsa_system_sgpr_workgroup_id_z 0
		.amdhsa_system_sgpr_workgroup_info 0
		.amdhsa_system_vgpr_workitem_id 0
		.amdhsa_next_free_vgpr 16
		.amdhsa_next_free_sgpr 7
		.amdhsa_named_barrier_count 0
		.amdhsa_reserve_vcc 1
		.amdhsa_float_round_mode_32 0
		.amdhsa_float_round_mode_16_64 0
		.amdhsa_float_denorm_mode_32 3
		.amdhsa_float_denorm_mode_16_64 3
		.amdhsa_fp16_overflow 0
		.amdhsa_memory_ordered 1
		.amdhsa_forward_progress 1
		.amdhsa_inst_pref_size 17
		.amdhsa_round_robin_scheduling 0
		.amdhsa_exception_fp_ieee_invalid_op 0
		.amdhsa_exception_fp_denorm_src 0
		.amdhsa_exception_fp_ieee_div_zero 0
		.amdhsa_exception_fp_ieee_overflow 0
		.amdhsa_exception_fp_ieee_underflow 0
		.amdhsa_exception_fp_ieee_inexact 0
		.amdhsa_exception_int_div_zero 0
	.end_amdhsa_kernel
	.section	.text._Z19sort_keys_segmentedILj32ELj32ELj1ELb0E12hip_bfloat16N10test_utils4lessEEvPT3_PKjT4_,"axG",@progbits,_Z19sort_keys_segmentedILj32ELj32ELj1ELb0E12hip_bfloat16N10test_utils4lessEEvPT3_PKjT4_,comdat
.Lfunc_end5:
	.size	_Z19sort_keys_segmentedILj32ELj32ELj1ELb0E12hip_bfloat16N10test_utils4lessEEvPT3_PKjT4_, .Lfunc_end5-_Z19sort_keys_segmentedILj32ELj32ELj1ELb0E12hip_bfloat16N10test_utils4lessEEvPT3_PKjT4_
                                        ; -- End function
	.set _Z19sort_keys_segmentedILj32ELj32ELj1ELb0E12hip_bfloat16N10test_utils4lessEEvPT3_PKjT4_.num_vgpr, 16
	.set _Z19sort_keys_segmentedILj32ELj32ELj1ELb0E12hip_bfloat16N10test_utils4lessEEvPT3_PKjT4_.num_agpr, 0
	.set _Z19sort_keys_segmentedILj32ELj32ELj1ELb0E12hip_bfloat16N10test_utils4lessEEvPT3_PKjT4_.numbered_sgpr, 7
	.set _Z19sort_keys_segmentedILj32ELj32ELj1ELb0E12hip_bfloat16N10test_utils4lessEEvPT3_PKjT4_.num_named_barrier, 0
	.set _Z19sort_keys_segmentedILj32ELj32ELj1ELb0E12hip_bfloat16N10test_utils4lessEEvPT3_PKjT4_.private_seg_size, 0
	.set _Z19sort_keys_segmentedILj32ELj32ELj1ELb0E12hip_bfloat16N10test_utils4lessEEvPT3_PKjT4_.uses_vcc, 1
	.set _Z19sort_keys_segmentedILj32ELj32ELj1ELb0E12hip_bfloat16N10test_utils4lessEEvPT3_PKjT4_.uses_flat_scratch, 0
	.set _Z19sort_keys_segmentedILj32ELj32ELj1ELb0E12hip_bfloat16N10test_utils4lessEEvPT3_PKjT4_.has_dyn_sized_stack, 0
	.set _Z19sort_keys_segmentedILj32ELj32ELj1ELb0E12hip_bfloat16N10test_utils4lessEEvPT3_PKjT4_.has_recursion, 0
	.set _Z19sort_keys_segmentedILj32ELj32ELj1ELb0E12hip_bfloat16N10test_utils4lessEEvPT3_PKjT4_.has_indirect_call, 0
	.section	.AMDGPU.csdata,"",@progbits
; Kernel info:
; codeLenInByte = 2076
; TotalNumSgprs: 9
; NumVgprs: 16
; ScratchSize: 0
; MemoryBound: 0
; FloatMode: 240
; IeeeMode: 1
; LDSByteSize: 66 bytes/workgroup (compile time only)
; SGPRBlocks: 0
; VGPRBlocks: 0
; NumSGPRsForWavesPerEU: 9
; NumVGPRsForWavesPerEU: 16
; NamedBarCnt: 0
; Occupancy: 16
; WaveLimiterHint : 0
; COMPUTE_PGM_RSRC2:SCRATCH_EN: 0
; COMPUTE_PGM_RSRC2:USER_SGPR: 2
; COMPUTE_PGM_RSRC2:TRAP_HANDLER: 0
; COMPUTE_PGM_RSRC2:TGID_X_EN: 1
; COMPUTE_PGM_RSRC2:TGID_Y_EN: 0
; COMPUTE_PGM_RSRC2:TGID_Z_EN: 0
; COMPUTE_PGM_RSRC2:TIDIG_COMP_CNT: 0
	.section	.text._Z19sort_keys_segmentedILj32ELj32ELj1ELb0E6__halfN10test_utils4lessEEvPT3_PKjT4_,"axG",@progbits,_Z19sort_keys_segmentedILj32ELj32ELj1ELb0E6__halfN10test_utils4lessEEvPT3_PKjT4_,comdat
	.protected	_Z19sort_keys_segmentedILj32ELj32ELj1ELb0E6__halfN10test_utils4lessEEvPT3_PKjT4_ ; -- Begin function _Z19sort_keys_segmentedILj32ELj32ELj1ELb0E6__halfN10test_utils4lessEEvPT3_PKjT4_
	.globl	_Z19sort_keys_segmentedILj32ELj32ELj1ELb0E6__halfN10test_utils4lessEEvPT3_PKjT4_
	.p2align	8
	.type	_Z19sort_keys_segmentedILj32ELj32ELj1ELb0E6__halfN10test_utils4lessEEvPT3_PKjT4_,@function
_Z19sort_keys_segmentedILj32ELj32ELj1ELb0E6__halfN10test_utils4lessEEvPT3_PKjT4_: ; @_Z19sort_keys_segmentedILj32ELj32ELj1ELb0E6__halfN10test_utils4lessEEvPT3_PKjT4_
; %bb.0:
	s_load_b128 s[0:3], s[0:1], 0x0
	s_bfe_u32 s4, ttmp6, 0x4000c
	s_and_b32 s5, ttmp6, 15
	s_add_co_i32 s4, s4, 1
	s_getreg_b32 s6, hwreg(HW_REG_IB_STS2, 6, 4)
	s_mul_i32 s4, ttmp9, s4
	v_mbcnt_lo_u32_b32 v3, -1, 0
	s_add_co_i32 s5, s5, s4
	s_cmp_eq_u32 s6, 0
                                        ; implicit-def: $vgpr10
	v_mov_b32_e32 v1, 0
	s_cselect_b32 s4, ttmp9, s5
	s_delay_alu instid0(SALU_CYCLE_1)
	v_mov_b32_e32 v0, s4
	s_wait_kmcnt 0x0
	global_load_b32 v2, v0, s[2:3] scale_offset
	s_wait_xcnt 0x0
	s_mov_b32 s3, 0
	s_lshl_b32 s2, s4, 5
	v_lshlrev_b32_e32 v0, 1, v3
	s_lshl_b64 s[2:3], s[2:3], 1
	s_delay_alu instid0(SALU_CYCLE_1)
	s_add_nc_u64 s[4:5], s[0:1], s[2:3]
	s_wait_loadcnt 0x0
	v_cmp_lt_u32_e32 vcc_lo, v3, v2
	s_and_saveexec_b32 s0, vcc_lo
	s_cbranch_execz .LBB6_2
; %bb.1:
	v_add_nc_u64_e32 v[4:5], s[4:5], v[0:1]
	global_load_u16 v10, v[4:5], off
.LBB6_2:
	s_wait_xcnt 0x0
	s_or_b32 exec_lo, exec_lo, s0
	v_and_b32_e32 v1, 30, v3
	s_mov_b32 s1, exec_lo
	; wave barrier
	s_wait_loadcnt 0x0
	ds_store_b16 v0, v10
	v_min_i32_e32 v8, v2, v1
	; wave barrier
	s_delay_alu instid0(VALU_DEP_1) | instskip(SKIP_1) | instid1(VALU_DEP_2)
	v_add_min_i32_e64 v6, v8, 1, v2
	v_and_b32_e32 v1, 1, v3
	v_add_min_i32_e64 v4, v6, 1, v2
	s_delay_alu instid0(VALU_DEP_1) | instskip(NEXT) | instid1(VALU_DEP_1)
	v_dual_sub_nc_u32 v5, v4, v6 :: v_dual_min_i32 v1, v2, v1
	v_sub_nc_u32_e32 v7, v1, v5
	v_cmp_ge_i32_e64 s0, v1, v5
	s_delay_alu instid0(VALU_DEP_1) | instskip(NEXT) | instid1(VALU_DEP_1)
	v_dual_cndmask_b32 v9, 0, v7, s0 :: v_dual_sub_nc_u32 v11, v6, v8
	v_dual_lshlrev_b32 v5, 1, v8 :: v_dual_min_i32 v7, v1, v11
	s_delay_alu instid0(VALU_DEP_1)
	v_cmpx_lt_i32_e64 v9, v7
	s_cbranch_execz .LBB6_6
; %bb.3:
	v_lshlrev_b32_e32 v10, 1, v1
	s_mov_b32 s2, 0
	s_delay_alu instid0(VALU_DEP_1)
	v_lshl_add_u32 v10, v6, 1, v10
.LBB6_4:                                ; =>This Inner Loop Header: Depth=1
	v_sub_nc_u32_e32 v11, v7, v9
	s_delay_alu instid0(VALU_DEP_1) | instskip(NEXT) | instid1(VALU_DEP_1)
	v_lshrrev_b32_e32 v11, 1, v11
	v_add_nc_u32_e32 v11, v11, v9
	s_delay_alu instid0(VALU_DEP_1) | instskip(SKIP_1) | instid1(VALU_DEP_2)
	v_not_b32_e32 v12, v11
	v_lshl_add_u32 v13, v11, 1, v5
	v_lshl_add_u32 v12, v12, 1, v10
	ds_load_u16 v13, v13
	ds_load_u16 v12, v12
	s_wait_dscnt 0x0
	v_cmp_lt_f16_e64 s0, v12, v13
	s_delay_alu instid0(VALU_DEP_1) | instskip(NEXT) | instid1(VALU_DEP_1)
	v_dual_add_nc_u32 v14, 1, v11 :: v_dual_cndmask_b32 v7, v7, v11, s0
	v_cndmask_b32_e64 v9, v14, v9, s0
	s_delay_alu instid0(VALU_DEP_1) | instskip(SKIP_1) | instid1(SALU_CYCLE_1)
	v_cmp_ge_i32_e64 s0, v9, v7
	s_or_b32 s2, s0, s2
	s_and_not1_b32 exec_lo, exec_lo, s2
	s_cbranch_execnz .LBB6_4
; %bb.5:
	s_or_b32 exec_lo, exec_lo, s2
.LBB6_6:
	s_delay_alu instid0(SALU_CYCLE_1) | instskip(SKIP_2) | instid1(VALU_DEP_1)
	s_or_b32 exec_lo, exec_lo, s1
	v_dual_add_nc_u32 v1, v6, v1 :: v_dual_bitop2_b32 v13, 3, v3 bitop3:0x40
	s_mov_b32 s3, 0
	v_dual_sub_nc_u32 v10, v1, v9 :: v_dual_bitop2_b32 v7, 28, v3 bitop3:0x40
	v_lshl_add_u32 v1, v9, 1, v5
	s_delay_alu instid0(VALU_DEP_2) | instskip(NEXT) | instid1(VALU_DEP_3)
	v_dual_add_nc_u32 v9, v9, v8 :: v_dual_min_i32 v7, v2, v7
	v_lshlrev_b32_e32 v5, 1, v10
	v_cmp_gt_i32_e64 s2, v4, v10
	ds_load_u16 v11, v1
	ds_load_u16 v12, v5
	v_add_min_i32_e64 v5, v7, 2, v2
	v_min_i32_e32 v8, v2, v13
	v_cmp_le_i32_e64 s0, v6, v9
	v_lshlrev_b32_e32 v4, 1, v7
	s_delay_alu instid0(VALU_DEP_4) | instskip(SKIP_1) | instid1(VALU_DEP_1)
	v_add_min_i32_e64 v1, v5, 2, v2
	v_sub_nc_u32_e32 v6, v5, v7
	; wave barrier
	v_dual_sub_nc_u32 v13, v1, v5 :: v_dual_min_i32 v6, v8, v6
	s_delay_alu instid0(VALU_DEP_1) | instskip(SKIP_4) | instid1(VALU_DEP_1)
	v_sub_nc_u32_e32 v9, v8, v13
	s_wait_dscnt 0x0
	v_cmp_lt_f16_e64 s1, v12, v11
	s_or_b32 s1, s0, s1
	v_cmp_ge_i32_e64 s0, v8, v13
	v_cndmask_b32_e64 v9, 0, v9, s0
	s_and_b32 s0, s2, s1
	s_mov_b32 s1, exec_lo
	v_cndmask_b32_e64 v10, v11, v12, s0
	ds_store_b16 v0, v10
	; wave barrier
	v_cmpx_lt_i32_e64 v9, v6
	s_cbranch_execz .LBB6_10
; %bb.7:
	v_lshlrev_b32_e32 v10, 1, v8
	s_delay_alu instid0(VALU_DEP_1)
	v_lshl_add_u32 v10, v5, 1, v10
.LBB6_8:                                ; =>This Inner Loop Header: Depth=1
	v_sub_nc_u32_e32 v11, v6, v9
	s_delay_alu instid0(VALU_DEP_1) | instskip(NEXT) | instid1(VALU_DEP_1)
	v_lshrrev_b32_e32 v11, 1, v11
	v_add_nc_u32_e32 v11, v11, v9
	s_delay_alu instid0(VALU_DEP_1) | instskip(SKIP_1) | instid1(VALU_DEP_2)
	v_not_b32_e32 v12, v11
	v_lshl_add_u32 v13, v11, 1, v4
	v_lshl_add_u32 v12, v12, 1, v10
	ds_load_u16 v13, v13
	ds_load_u16 v12, v12
	s_wait_dscnt 0x0
	v_cmp_lt_f16_e64 s0, v12, v13
	s_delay_alu instid0(VALU_DEP_1) | instskip(NEXT) | instid1(VALU_DEP_1)
	v_dual_add_nc_u32 v14, 1, v11 :: v_dual_cndmask_b32 v6, v6, v11, s0
	v_cndmask_b32_e64 v9, v14, v9, s0
	s_delay_alu instid0(VALU_DEP_1) | instskip(SKIP_1) | instid1(SALU_CYCLE_1)
	v_cmp_ge_i32_e64 s0, v9, v6
	s_or_b32 s3, s0, s3
	s_and_not1_b32 exec_lo, exec_lo, s3
	s_cbranch_execnz .LBB6_8
; %bb.9:
	s_or_b32 exec_lo, exec_lo, s3
.LBB6_10:
	s_delay_alu instid0(SALU_CYCLE_1) | instskip(SKIP_3) | instid1(VALU_DEP_2)
	s_or_b32 exec_lo, exec_lo, s1
	v_dual_add_nc_u32 v6, v5, v8 :: v_dual_bitop2_b32 v8, 24, v3 bitop3:0x40
	v_lshl_add_u32 v4, v9, 1, v4
	s_mov_b32 s3, 0
	v_dual_sub_nc_u32 v10, v6, v9 :: v_dual_bitop2_b32 v13, 7, v3 bitop3:0x40
	s_delay_alu instid0(VALU_DEP_3) | instskip(NEXT) | instid1(VALU_DEP_2)
	v_dual_add_nc_u32 v9, v9, v7 :: v_dual_min_i32 v8, v2, v8
	v_dual_lshlrev_b32 v6, 1, v10 :: v_dual_min_i32 v7, v2, v13
	s_delay_alu instid0(VALU_DEP_2)
	v_cmp_le_i32_e64 s0, v5, v9
	v_cmp_gt_i32_e64 s2, v1, v10
	ds_load_u16 v11, v4
	ds_load_u16 v12, v6
	v_add_min_i32_e64 v6, v8, 4, v2
	; wave barrier
	v_lshlrev_b32_e32 v1, 1, v8
	s_delay_alu instid0(VALU_DEP_2) | instskip(NEXT) | instid1(VALU_DEP_1)
	v_add_min_i32_e64 v4, v6, 4, v2
	v_dual_sub_nc_u32 v5, v6, v8 :: v_dual_sub_nc_u32 v13, v4, v6
	s_delay_alu instid0(VALU_DEP_1) | instskip(NEXT) | instid1(VALU_DEP_2)
	v_min_i32_e32 v5, v7, v5
	v_sub_nc_u32_e32 v9, v7, v13
	s_wait_dscnt 0x0
	v_cmp_lt_f16_e64 s1, v12, v11
	s_or_b32 s1, s0, s1
	v_cmp_ge_i32_e64 s0, v7, v13
	s_delay_alu instid0(VALU_DEP_1)
	v_cndmask_b32_e64 v9, 0, v9, s0
	s_and_b32 s0, s2, s1
	s_mov_b32 s1, exec_lo
	v_cndmask_b32_e64 v10, v11, v12, s0
	ds_store_b16 v0, v10
	; wave barrier
	v_cmpx_lt_i32_e64 v9, v5
	s_cbranch_execz .LBB6_14
; %bb.11:
	v_lshlrev_b32_e32 v10, 1, v7
	s_delay_alu instid0(VALU_DEP_1)
	v_lshl_add_u32 v10, v6, 1, v10
.LBB6_12:                               ; =>This Inner Loop Header: Depth=1
	v_sub_nc_u32_e32 v11, v5, v9
	s_delay_alu instid0(VALU_DEP_1) | instskip(NEXT) | instid1(VALU_DEP_1)
	v_lshrrev_b32_e32 v11, 1, v11
	v_add_nc_u32_e32 v11, v11, v9
	s_delay_alu instid0(VALU_DEP_1) | instskip(SKIP_1) | instid1(VALU_DEP_2)
	v_not_b32_e32 v12, v11
	v_lshl_add_u32 v13, v11, 1, v1
	v_lshl_add_u32 v12, v12, 1, v10
	ds_load_u16 v13, v13
	ds_load_u16 v12, v12
	s_wait_dscnt 0x0
	v_cmp_lt_f16_e64 s0, v12, v13
	s_delay_alu instid0(VALU_DEP_1) | instskip(NEXT) | instid1(VALU_DEP_1)
	v_dual_add_nc_u32 v14, 1, v11 :: v_dual_cndmask_b32 v5, v5, v11, s0
	v_cndmask_b32_e64 v9, v14, v9, s0
	s_delay_alu instid0(VALU_DEP_1) | instskip(SKIP_1) | instid1(SALU_CYCLE_1)
	v_cmp_ge_i32_e64 s0, v9, v5
	s_or_b32 s3, s0, s3
	s_and_not1_b32 exec_lo, exec_lo, s3
	s_cbranch_execnz .LBB6_12
; %bb.13:
	s_or_b32 exec_lo, exec_lo, s3
.LBB6_14:
	s_delay_alu instid0(SALU_CYCLE_1) | instskip(SKIP_4) | instid1(VALU_DEP_3)
	s_or_b32 exec_lo, exec_lo, s1
	v_add_nc_u32_e32 v5, v6, v7
	v_lshl_add_u32 v1, v9, 1, v1
	v_and_b32_e32 v13, 15, v3
	s_mov_b32 s3, 0
	v_dual_sub_nc_u32 v10, v5, v9 :: v_dual_bitop2_b32 v7, 16, v3 bitop3:0x40
	s_delay_alu instid0(VALU_DEP_1) | instskip(NEXT) | instid1(VALU_DEP_2)
	v_dual_add_nc_u32 v9, v9, v8 :: v_dual_min_i32 v7, v2, v7
	v_lshlrev_b32_e32 v5, 1, v10
	s_delay_alu instid0(VALU_DEP_2)
	v_cmp_le_i32_e64 s0, v6, v9
	v_cmp_gt_i32_e64 s2, v4, v10
	ds_load_u16 v11, v1
	ds_load_u16 v12, v5
	v_add_min_i32_e64 v5, v7, 8, v2
	v_dual_lshlrev_b32 v4, 1, v7 :: v_dual_min_i32 v8, v2, v13
	; wave barrier
	s_delay_alu instid0(VALU_DEP_2) | instskip(SKIP_1) | instid1(VALU_DEP_1)
	v_add_min_i32_e64 v1, v5, 8, v2
	v_sub_nc_u32_e32 v6, v5, v7
	v_dual_sub_nc_u32 v13, v1, v5 :: v_dual_min_i32 v6, v8, v6
	s_delay_alu instid0(VALU_DEP_1) | instskip(SKIP_4) | instid1(VALU_DEP_1)
	v_sub_nc_u32_e32 v9, v8, v13
	s_wait_dscnt 0x0
	v_cmp_lt_f16_e64 s1, v12, v11
	s_or_b32 s1, s0, s1
	v_cmp_ge_i32_e64 s0, v8, v13
	v_cndmask_b32_e64 v9, 0, v9, s0
	s_and_b32 s0, s2, s1
	s_mov_b32 s1, exec_lo
	v_cndmask_b32_e64 v10, v11, v12, s0
	ds_store_b16 v0, v10
	; wave barrier
	v_cmpx_lt_i32_e64 v9, v6
	s_cbranch_execz .LBB6_18
; %bb.15:
	v_lshlrev_b32_e32 v10, 1, v8
	s_delay_alu instid0(VALU_DEP_1)
	v_lshl_add_u32 v10, v5, 1, v10
.LBB6_16:                               ; =>This Inner Loop Header: Depth=1
	v_sub_nc_u32_e32 v11, v6, v9
	s_delay_alu instid0(VALU_DEP_1) | instskip(NEXT) | instid1(VALU_DEP_1)
	v_lshrrev_b32_e32 v11, 1, v11
	v_add_nc_u32_e32 v11, v11, v9
	s_delay_alu instid0(VALU_DEP_1) | instskip(SKIP_1) | instid1(VALU_DEP_2)
	v_not_b32_e32 v12, v11
	v_lshl_add_u32 v13, v11, 1, v4
	v_lshl_add_u32 v12, v12, 1, v10
	ds_load_u16 v13, v13
	ds_load_u16 v12, v12
	s_wait_dscnt 0x0
	v_cmp_lt_f16_e64 s0, v12, v13
	s_delay_alu instid0(VALU_DEP_1) | instskip(NEXT) | instid1(VALU_DEP_1)
	v_dual_add_nc_u32 v14, 1, v11 :: v_dual_cndmask_b32 v6, v6, v11, s0
	v_cndmask_b32_e64 v9, v14, v9, s0
	s_delay_alu instid0(VALU_DEP_1) | instskip(SKIP_1) | instid1(SALU_CYCLE_1)
	v_cmp_ge_i32_e64 s0, v9, v6
	s_or_b32 s3, s0, s3
	s_and_not1_b32 exec_lo, exec_lo, s3
	s_cbranch_execnz .LBB6_16
; %bb.17:
	s_or_b32 exec_lo, exec_lo, s3
.LBB6_18:
	s_delay_alu instid0(SALU_CYCLE_1) | instskip(SKIP_3) | instid1(VALU_DEP_2)
	s_or_b32 exec_lo, exec_lo, s1
	v_add_nc_u32_e32 v6, v5, v8
	v_lshl_add_u32 v4, v9, 1, v4
	s_mov_b32 s3, 0
	v_dual_add_nc_u32 v7, v9, v7 :: v_dual_sub_nc_u32 v10, v6, v9
	s_delay_alu instid0(VALU_DEP_1) | instskip(NEXT) | instid1(VALU_DEP_2)
	v_cmp_le_i32_e64 s0, v5, v7
	v_lshlrev_b32_e32 v6, 1, v10
	ds_load_u16 v11, v4
	ds_load_u16 v12, v6
	v_min_i32_e32 v6, 0, v2
	v_cmp_gt_i32_e64 s2, v1, v10
	; wave barrier
	s_delay_alu instid0(VALU_DEP_2) | instskip(NEXT) | instid1(VALU_DEP_1)
	v_add_min_i32_e64 v8, v6, 16, v2
	v_add_min_i32_e64 v4, v8, 16, v2
	v_dual_sub_nc_u32 v5, v8, v6 :: v_dual_min_i32 v2, v2, v3
	s_delay_alu instid0(VALU_DEP_1) | instskip(SKIP_2) | instid1(VALU_DEP_2)
	v_dual_sub_nc_u32 v3, v4, v8 :: v_dual_min_i32 v5, v2, v5
	s_wait_dscnt 0x0
	v_cmp_lt_f16_e64 s1, v12, v11
	v_sub_nc_u32_e32 v7, v2, v3
	s_or_b32 s1, s0, s1
	v_cmp_ge_i32_e64 s0, v2, v3
	s_delay_alu instid0(VALU_DEP_1)
	v_dual_lshlrev_b32 v3, 1, v6 :: v_dual_cndmask_b32 v1, 0, v7, s0
	s_and_b32 s0, s2, s1
	s_mov_b32 s1, exec_lo
	v_cndmask_b32_e64 v7, v11, v12, s0
	ds_store_b16 v0, v7
	; wave barrier
	v_cmpx_lt_i32_e64 v1, v5
	s_cbranch_execnz .LBB6_21
; %bb.19:
	s_or_b32 exec_lo, exec_lo, s1
	s_and_saveexec_b32 s0, vcc_lo
	s_cbranch_execnz .LBB6_24
.LBB6_20:
	s_endpgm
.LBB6_21:
	v_lshlrev_b32_e32 v7, 1, v2
	s_delay_alu instid0(VALU_DEP_1)
	v_lshl_add_u32 v7, v8, 1, v7
.LBB6_22:                               ; =>This Inner Loop Header: Depth=1
	v_sub_nc_u32_e32 v9, v5, v1
	s_delay_alu instid0(VALU_DEP_1) | instskip(NEXT) | instid1(VALU_DEP_1)
	v_lshrrev_b32_e32 v9, 1, v9
	v_add_nc_u32_e32 v9, v9, v1
	s_delay_alu instid0(VALU_DEP_1) | instskip(SKIP_1) | instid1(VALU_DEP_2)
	v_not_b32_e32 v10, v9
	v_lshl_add_u32 v11, v9, 1, v3
	v_lshl_add_u32 v10, v10, 1, v7
	ds_load_u16 v11, v11
	ds_load_u16 v10, v10
	s_wait_dscnt 0x0
	v_cmp_lt_f16_e64 s0, v10, v11
	s_delay_alu instid0(VALU_DEP_1) | instskip(NEXT) | instid1(VALU_DEP_1)
	v_dual_add_nc_u32 v12, 1, v9 :: v_dual_cndmask_b32 v5, v5, v9, s0
	v_cndmask_b32_e64 v1, v12, v1, s0
	s_delay_alu instid0(VALU_DEP_1) | instskip(SKIP_1) | instid1(SALU_CYCLE_1)
	v_cmp_ge_i32_e64 s0, v1, v5
	s_or_b32 s3, s0, s3
	s_and_not1_b32 exec_lo, exec_lo, s3
	s_cbranch_execnz .LBB6_22
; %bb.23:
	s_or_b32 exec_lo, exec_lo, s3
	s_delay_alu instid0(SALU_CYCLE_1)
	s_or_b32 exec_lo, exec_lo, s1
	s_and_saveexec_b32 s0, vcc_lo
	s_cbranch_execz .LBB6_20
.LBB6_24:
	v_add_nc_u32_e32 v2, v8, v2
	v_lshl_add_u32 v3, v1, 1, v3
	s_delay_alu instid0(VALU_DEP_2) | instskip(NEXT) | instid1(VALU_DEP_1)
	v_dual_sub_nc_u32 v2, v2, v1 :: v_dual_add_nc_u32 v1, v1, v6
	v_lshlrev_b32_e32 v5, 1, v2
	s_delay_alu instid0(VALU_DEP_2)
	v_cmp_le_i32_e32 vcc_lo, v8, v1
	v_mov_b32_e32 v1, 0
	v_cmp_gt_i32_e64 s1, v4, v2
	ds_load_u16 v5, v5
	ds_load_u16 v3, v3
	v_add_nc_u64_e32 v[0:1], s[4:5], v[0:1]
	s_wait_dscnt 0x0
	v_cmp_lt_f16_e64 s0, v5, v3
	s_or_b32 s0, vcc_lo, s0
	s_delay_alu instid0(SALU_CYCLE_1)
	s_and_b32 vcc_lo, s1, s0
	v_cndmask_b32_e32 v2, v3, v5, vcc_lo
	global_store_b16 v[0:1], v2, off
	s_endpgm
	.section	.rodata,"a",@progbits
	.p2align	6, 0x0
	.amdhsa_kernel _Z19sort_keys_segmentedILj32ELj32ELj1ELb0E6__halfN10test_utils4lessEEvPT3_PKjT4_
		.amdhsa_group_segment_fixed_size 66
		.amdhsa_private_segment_fixed_size 0
		.amdhsa_kernarg_size 20
		.amdhsa_user_sgpr_count 2
		.amdhsa_user_sgpr_dispatch_ptr 0
		.amdhsa_user_sgpr_queue_ptr 0
		.amdhsa_user_sgpr_kernarg_segment_ptr 1
		.amdhsa_user_sgpr_dispatch_id 0
		.amdhsa_user_sgpr_kernarg_preload_length 0
		.amdhsa_user_sgpr_kernarg_preload_offset 0
		.amdhsa_user_sgpr_private_segment_size 0
		.amdhsa_wavefront_size32 1
		.amdhsa_uses_dynamic_stack 0
		.amdhsa_enable_private_segment 0
		.amdhsa_system_sgpr_workgroup_id_x 1
		.amdhsa_system_sgpr_workgroup_id_y 0
		.amdhsa_system_sgpr_workgroup_id_z 0
		.amdhsa_system_sgpr_workgroup_info 0
		.amdhsa_system_vgpr_workitem_id 0
		.amdhsa_next_free_vgpr 15
		.amdhsa_next_free_sgpr 7
		.amdhsa_named_barrier_count 0
		.amdhsa_reserve_vcc 1
		.amdhsa_float_round_mode_32 0
		.amdhsa_float_round_mode_16_64 0
		.amdhsa_float_denorm_mode_32 3
		.amdhsa_float_denorm_mode_16_64 3
		.amdhsa_fp16_overflow 0
		.amdhsa_memory_ordered 1
		.amdhsa_forward_progress 1
		.amdhsa_inst_pref_size 16
		.amdhsa_round_robin_scheduling 0
		.amdhsa_exception_fp_ieee_invalid_op 0
		.amdhsa_exception_fp_denorm_src 0
		.amdhsa_exception_fp_ieee_div_zero 0
		.amdhsa_exception_fp_ieee_overflow 0
		.amdhsa_exception_fp_ieee_underflow 0
		.amdhsa_exception_fp_ieee_inexact 0
		.amdhsa_exception_int_div_zero 0
	.end_amdhsa_kernel
	.section	.text._Z19sort_keys_segmentedILj32ELj32ELj1ELb0E6__halfN10test_utils4lessEEvPT3_PKjT4_,"axG",@progbits,_Z19sort_keys_segmentedILj32ELj32ELj1ELb0E6__halfN10test_utils4lessEEvPT3_PKjT4_,comdat
.Lfunc_end6:
	.size	_Z19sort_keys_segmentedILj32ELj32ELj1ELb0E6__halfN10test_utils4lessEEvPT3_PKjT4_, .Lfunc_end6-_Z19sort_keys_segmentedILj32ELj32ELj1ELb0E6__halfN10test_utils4lessEEvPT3_PKjT4_
                                        ; -- End function
	.set _Z19sort_keys_segmentedILj32ELj32ELj1ELb0E6__halfN10test_utils4lessEEvPT3_PKjT4_.num_vgpr, 15
	.set _Z19sort_keys_segmentedILj32ELj32ELj1ELb0E6__halfN10test_utils4lessEEvPT3_PKjT4_.num_agpr, 0
	.set _Z19sort_keys_segmentedILj32ELj32ELj1ELb0E6__halfN10test_utils4lessEEvPT3_PKjT4_.numbered_sgpr, 7
	.set _Z19sort_keys_segmentedILj32ELj32ELj1ELb0E6__halfN10test_utils4lessEEvPT3_PKjT4_.num_named_barrier, 0
	.set _Z19sort_keys_segmentedILj32ELj32ELj1ELb0E6__halfN10test_utils4lessEEvPT3_PKjT4_.private_seg_size, 0
	.set _Z19sort_keys_segmentedILj32ELj32ELj1ELb0E6__halfN10test_utils4lessEEvPT3_PKjT4_.uses_vcc, 1
	.set _Z19sort_keys_segmentedILj32ELj32ELj1ELb0E6__halfN10test_utils4lessEEvPT3_PKjT4_.uses_flat_scratch, 0
	.set _Z19sort_keys_segmentedILj32ELj32ELj1ELb0E6__halfN10test_utils4lessEEvPT3_PKjT4_.has_dyn_sized_stack, 0
	.set _Z19sort_keys_segmentedILj32ELj32ELj1ELb0E6__halfN10test_utils4lessEEvPT3_PKjT4_.has_recursion, 0
	.set _Z19sort_keys_segmentedILj32ELj32ELj1ELb0E6__halfN10test_utils4lessEEvPT3_PKjT4_.has_indirect_call, 0
	.section	.AMDGPU.csdata,"",@progbits
; Kernel info:
; codeLenInByte = 1972
; TotalNumSgprs: 9
; NumVgprs: 15
; ScratchSize: 0
; MemoryBound: 0
; FloatMode: 240
; IeeeMode: 1
; LDSByteSize: 66 bytes/workgroup (compile time only)
; SGPRBlocks: 0
; VGPRBlocks: 0
; NumSGPRsForWavesPerEU: 9
; NumVGPRsForWavesPerEU: 15
; NamedBarCnt: 0
; Occupancy: 16
; WaveLimiterHint : 0
; COMPUTE_PGM_RSRC2:SCRATCH_EN: 0
; COMPUTE_PGM_RSRC2:USER_SGPR: 2
; COMPUTE_PGM_RSRC2:TRAP_HANDLER: 0
; COMPUTE_PGM_RSRC2:TGID_X_EN: 1
; COMPUTE_PGM_RSRC2:TGID_Y_EN: 0
; COMPUTE_PGM_RSRC2:TGID_Z_EN: 0
; COMPUTE_PGM_RSRC2:TIDIG_COMP_CNT: 0
	.section	.text._Z19sort_keys_segmentedILj512ELj64ELj1ELb0EsN10test_utils4lessEEvPT3_PKjT4_,"axG",@progbits,_Z19sort_keys_segmentedILj512ELj64ELj1ELb0EsN10test_utils4lessEEvPT3_PKjT4_,comdat
	.protected	_Z19sort_keys_segmentedILj512ELj64ELj1ELb0EsN10test_utils4lessEEvPT3_PKjT4_ ; -- Begin function _Z19sort_keys_segmentedILj512ELj64ELj1ELb0EsN10test_utils4lessEEvPT3_PKjT4_
	.globl	_Z19sort_keys_segmentedILj512ELj64ELj1ELb0EsN10test_utils4lessEEvPT3_PKjT4_
	.p2align	8
	.type	_Z19sort_keys_segmentedILj512ELj64ELj1ELb0EsN10test_utils4lessEEvPT3_PKjT4_,@function
_Z19sort_keys_segmentedILj512ELj64ELj1ELb0EsN10test_utils4lessEEvPT3_PKjT4_: ; @_Z19sort_keys_segmentedILj512ELj64ELj1ELb0EsN10test_utils4lessEEvPT3_PKjT4_
; %bb.0:
	s_load_b128 s[0:3], s[0:1], 0x0
	s_bfe_u32 s4, ttmp6, 0x4000c
	s_and_b32 s5, ttmp6, 15
	s_add_co_i32 s4, s4, 1
	s_getreg_b32 s6, hwreg(HW_REG_IB_STS2, 6, 4)
	s_mul_i32 s4, ttmp9, s4
	v_dual_lshrrev_b32 v9, 6, v0 :: v_dual_mov_b32 v1, 0
	s_add_co_i32 s5, s5, s4
	s_cmp_eq_u32 s6, 0
	v_mbcnt_lo_u32_b32 v6, -1, 0
	s_cselect_b32 s4, ttmp9, s5
                                        ; implicit-def: $vgpr14
	s_delay_alu instid0(SALU_CYCLE_1) | instskip(SKIP_4) | instid1(VALU_DEP_1)
	v_lshl_or_b32 v0, s4, 3, v9
	s_wait_kmcnt 0x0
	global_load_b32 v4, v0, s[2:3] scale_offset
	s_wait_xcnt 0x0
	v_lshlrev_b32_e32 v0, 6, v0
	v_lshl_add_u64 v[2:3], v[0:1], 1, s[0:1]
	v_lshlrev_b32_e32 v0, 1, v6
	s_wait_loadcnt 0x0
	v_cmp_lt_u32_e32 vcc_lo, v6, v4
	s_and_saveexec_b32 s0, vcc_lo
	s_cbranch_execz .LBB7_2
; %bb.1:
	v_add_nc_u64_e32 v[10:11], v[2:3], v[0:1]
	global_load_u16 v14, v[10:11], off
.LBB7_2:
	s_wait_xcnt 0x0
	s_or_b32 exec_lo, exec_lo, s0
	v_and_b32_e32 v1, 30, v6
	s_mov_b32 s1, exec_lo
	; wave barrier
	s_delay_alu instid0(VALU_DEP_1) | instskip(SKIP_1) | instid1(VALU_DEP_2)
	v_min_i32_e32 v12, v4, v1
	v_and_b32_e32 v1, 1, v6
	v_add_min_i32_e64 v10, v12, 1, v4
	s_delay_alu instid0(VALU_DEP_2) | instskip(NEXT) | instid1(VALU_DEP_2)
	v_min_i32_e32 v7, v4, v1
	v_add_min_i32_e64 v8, v10, 1, v4
	s_delay_alu instid0(VALU_DEP_1) | instskip(NEXT) | instid1(VALU_DEP_1)
	v_sub_nc_u32_e32 v1, v8, v10
	v_dual_sub_nc_u32 v5, v7, v1 :: v_dual_sub_nc_u32 v11, v10, v12
	v_lshlrev_b32_e32 v15, 1, v12
	v_cmp_ge_i32_e64 s0, v7, v1
	v_mul_u32_u24_e32 v1, 0x82, v9
	s_delay_alu instid0(VALU_DEP_2)
	v_dual_cndmask_b32 v13, 0, v5, s0 :: v_dual_min_i32 v11, v7, v11
	v_mad_u32_u24 v5, 0x82, v9, v0
	v_mad_u32_u24 v9, 0x82, v9, v15
	s_wait_loadcnt 0x0
	ds_store_b16 v5, v14
	; wave barrier
	v_cmpx_lt_i32_e64 v13, v11
	s_cbranch_execz .LBB7_6
; %bb.3:
	v_dual_lshlrev_b32 v14, 1, v10 :: v_dual_lshlrev_b32 v15, 1, v7
	s_mov_b32 s2, 0
	s_delay_alu instid0(VALU_DEP_1)
	v_add3_u32 v14, v1, v14, v15
.LBB7_4:                                ; =>This Inner Loop Header: Depth=1
	v_sub_nc_u32_e32 v15, v11, v13
	s_delay_alu instid0(VALU_DEP_1) | instskip(NEXT) | instid1(VALU_DEP_1)
	v_lshrrev_b32_e32 v15, 1, v15
	v_add_nc_u32_e32 v15, v15, v13
	s_delay_alu instid0(VALU_DEP_1) | instskip(SKIP_1) | instid1(VALU_DEP_2)
	v_not_b32_e32 v16, v15
	v_lshl_add_u32 v17, v15, 1, v9
	v_lshl_add_u32 v16, v16, 1, v14
	ds_load_u16 v17, v17
	ds_load_u16 v16, v16
	s_wait_dscnt 0x0
	v_cmp_lt_i16_e64 s0, v16, v17
	s_delay_alu instid0(VALU_DEP_1) | instskip(NEXT) | instid1(VALU_DEP_1)
	v_dual_add_nc_u32 v18, 1, v15 :: v_dual_cndmask_b32 v11, v11, v15, s0
	v_cndmask_b32_e64 v13, v18, v13, s0
	s_delay_alu instid0(VALU_DEP_1) | instskip(SKIP_1) | instid1(SALU_CYCLE_1)
	v_cmp_ge_i32_e64 s0, v13, v11
	s_or_b32 s2, s0, s2
	s_and_not1_b32 exec_lo, exec_lo, s2
	s_cbranch_execnz .LBB7_4
; %bb.5:
	s_or_b32 exec_lo, exec_lo, s2
.LBB7_6:
	s_delay_alu instid0(SALU_CYCLE_1) | instskip(SKIP_3) | instid1(VALU_DEP_2)
	s_or_b32 exec_lo, exec_lo, s1
	v_dual_add_nc_u32 v7, v10, v7 :: v_dual_bitop2_b32 v11, 28, v6 bitop3:0x40
	v_and_b32_e32 v17, 3, v6
	s_mov_b32 s3, 0
	v_dual_sub_nc_u32 v14, v7, v13 :: v_dual_min_i32 v11, v4, v11
	v_lshl_add_u32 v7, v13, 1, v9
	v_add_nc_u32_e32 v13, v13, v12
	s_delay_alu instid0(VALU_DEP_3) | instskip(SKIP_2) | instid1(VALU_DEP_4)
	v_lshl_add_u32 v9, v14, 1, v1
	v_cmp_gt_i32_e64 s2, v8, v14
	v_lshl_add_u32 v8, v11, 1, v1
	v_cmp_le_i32_e64 s0, v10, v13
	ds_load_u16 v15, v7
	ds_load_u16 v16, v9
	v_add_min_i32_e64 v9, v11, 2, v4
	v_min_i32_e32 v12, v4, v17
	; wave barrier
	s_delay_alu instid0(VALU_DEP_2) | instskip(NEXT) | instid1(VALU_DEP_1)
	v_add_min_i32_e64 v7, v9, 2, v4
	v_dual_sub_nc_u32 v10, v9, v11 :: v_dual_sub_nc_u32 v17, v7, v9
	s_delay_alu instid0(VALU_DEP_1) | instskip(SKIP_4) | instid1(VALU_DEP_1)
	v_dual_sub_nc_u32 v13, v12, v17 :: v_dual_min_i32 v10, v12, v10
	s_wait_dscnt 0x0
	v_cmp_lt_i16_e64 s1, v16, v15
	s_or_b32 s1, s0, s1
	v_cmp_ge_i32_e64 s0, v12, v17
	v_cndmask_b32_e64 v13, 0, v13, s0
	s_and_b32 s0, s2, s1
	s_mov_b32 s1, exec_lo
	v_cndmask_b32_e64 v14, v15, v16, s0
	ds_store_b16 v5, v14
	; wave barrier
	v_cmpx_lt_i32_e64 v13, v10
	s_cbranch_execz .LBB7_10
; %bb.7:
	v_dual_lshlrev_b32 v14, 1, v9 :: v_dual_lshlrev_b32 v15, 1, v12
	s_delay_alu instid0(VALU_DEP_1)
	v_add3_u32 v14, v1, v14, v15
.LBB7_8:                                ; =>This Inner Loop Header: Depth=1
	v_sub_nc_u32_e32 v15, v10, v13
	s_delay_alu instid0(VALU_DEP_1) | instskip(NEXT) | instid1(VALU_DEP_1)
	v_lshrrev_b32_e32 v15, 1, v15
	v_add_nc_u32_e32 v15, v15, v13
	s_delay_alu instid0(VALU_DEP_1) | instskip(SKIP_1) | instid1(VALU_DEP_2)
	v_not_b32_e32 v16, v15
	v_lshl_add_u32 v17, v15, 1, v8
	v_lshl_add_u32 v16, v16, 1, v14
	ds_load_u16 v17, v17
	ds_load_u16 v16, v16
	s_wait_dscnt 0x0
	v_cmp_lt_i16_e64 s0, v16, v17
	s_delay_alu instid0(VALU_DEP_1) | instskip(NEXT) | instid1(VALU_DEP_1)
	v_dual_add_nc_u32 v18, 1, v15 :: v_dual_cndmask_b32 v10, v10, v15, s0
	v_cndmask_b32_e64 v13, v18, v13, s0
	s_delay_alu instid0(VALU_DEP_1) | instskip(SKIP_1) | instid1(SALU_CYCLE_1)
	v_cmp_ge_i32_e64 s0, v13, v10
	s_or_b32 s3, s0, s3
	s_and_not1_b32 exec_lo, exec_lo, s3
	s_cbranch_execnz .LBB7_8
; %bb.9:
	s_or_b32 exec_lo, exec_lo, s3
.LBB7_10:
	s_delay_alu instid0(SALU_CYCLE_1) | instskip(SKIP_4) | instid1(VALU_DEP_3)
	s_or_b32 exec_lo, exec_lo, s1
	v_dual_add_nc_u32 v10, v9, v12 :: v_dual_bitop2_b32 v12, 24, v6 bitop3:0x40
	v_lshl_add_u32 v8, v13, 1, v8
	v_and_b32_e32 v17, 7, v6
	s_mov_b32 s3, 0
	v_dual_sub_nc_u32 v14, v10, v13 :: v_dual_min_i32 v12, v4, v12
	v_add_nc_u32_e32 v13, v13, v11
	s_delay_alu instid0(VALU_DEP_2) | instskip(SKIP_1) | instid1(VALU_DEP_3)
	v_lshl_add_u32 v10, v14, 1, v1
	v_cmp_gt_i32_e64 s2, v7, v14
	v_cmp_le_i32_e64 s0, v9, v13
	ds_load_u16 v15, v8
	ds_load_u16 v16, v10
	v_add_min_i32_e64 v10, v12, 4, v4
	v_min_i32_e32 v11, v4, v17
	; wave barrier
	s_delay_alu instid0(VALU_DEP_2) | instskip(NEXT) | instid1(VALU_DEP_1)
	v_add_min_i32_e64 v8, v10, 4, v4
	v_dual_sub_nc_u32 v9, v10, v12 :: v_dual_sub_nc_u32 v17, v8, v10
	s_delay_alu instid0(VALU_DEP_1) | instskip(SKIP_1) | instid1(VALU_DEP_3)
	v_min_i32_e32 v13, v11, v9
	v_lshl_add_u32 v9, v12, 1, v1
	v_sub_nc_u32_e32 v18, v11, v17
	s_wait_dscnt 0x0
	v_cmp_lt_i16_e64 s1, v16, v15
	s_or_b32 s1, s0, s1
	v_cmp_ge_i32_e64 s0, v11, v17
	s_delay_alu instid0(VALU_DEP_1)
	v_cndmask_b32_e64 v7, 0, v18, s0
	s_and_b32 s0, s2, s1
	s_mov_b32 s1, exec_lo
	v_cndmask_b32_e64 v14, v15, v16, s0
	ds_store_b16 v5, v14
	; wave barrier
	v_cmpx_lt_i32_e64 v7, v13
	s_cbranch_execz .LBB7_14
; %bb.11:
	v_dual_lshlrev_b32 v14, 1, v10 :: v_dual_lshlrev_b32 v15, 1, v11
	s_delay_alu instid0(VALU_DEP_1)
	v_add3_u32 v14, v1, v14, v15
.LBB7_12:                               ; =>This Inner Loop Header: Depth=1
	v_sub_nc_u32_e32 v15, v13, v7
	s_delay_alu instid0(VALU_DEP_1) | instskip(NEXT) | instid1(VALU_DEP_1)
	v_lshrrev_b32_e32 v15, 1, v15
	v_add_nc_u32_e32 v15, v15, v7
	s_delay_alu instid0(VALU_DEP_1) | instskip(SKIP_1) | instid1(VALU_DEP_2)
	v_not_b32_e32 v16, v15
	v_lshl_add_u32 v17, v15, 1, v9
	v_lshl_add_u32 v16, v16, 1, v14
	ds_load_u16 v17, v17
	ds_load_u16 v16, v16
	s_wait_dscnt 0x0
	v_cmp_lt_i16_e64 s0, v16, v17
	s_delay_alu instid0(VALU_DEP_1) | instskip(NEXT) | instid1(VALU_DEP_1)
	v_dual_add_nc_u32 v18, 1, v15 :: v_dual_cndmask_b32 v13, v13, v15, s0
	v_cndmask_b32_e64 v7, v18, v7, s0
	s_delay_alu instid0(VALU_DEP_1) | instskip(SKIP_1) | instid1(SALU_CYCLE_1)
	v_cmp_ge_i32_e64 s0, v7, v13
	s_or_b32 s3, s0, s3
	s_and_not1_b32 exec_lo, exec_lo, s3
	s_cbranch_execnz .LBB7_12
; %bb.13:
	s_or_b32 exec_lo, exec_lo, s3
.LBB7_14:
	s_delay_alu instid0(SALU_CYCLE_1) | instskip(SKIP_3) | instid1(VALU_DEP_3)
	s_or_b32 exec_lo, exec_lo, s1
	v_dual_add_nc_u32 v11, v10, v11 :: v_dual_bitop2_b32 v13, 16, v6 bitop3:0x40
	v_lshl_add_u32 v9, v7, 1, v9
	v_dual_add_nc_u32 v12, v7, v12 :: v_dual_bitop2_b32 v17, 15, v6 bitop3:0x40
	v_dual_sub_nc_u32 v14, v11, v7 :: v_dual_min_i32 v13, v4, v13
	s_mov_b32 s3, 0
	s_delay_alu instid0(VALU_DEP_2) | instskip(NEXT) | instid1(VALU_DEP_2)
	v_cmp_le_i32_e64 s0, v10, v12
	v_lshl_add_u32 v11, v14, 1, v1
	v_cmp_gt_i32_e64 s2, v8, v14
	ds_load_u16 v15, v9
	ds_load_u16 v16, v11
	v_add_min_i32_e64 v11, v13, 8, v4
	; wave barrier
	s_delay_alu instid0(VALU_DEP_1) | instskip(NEXT) | instid1(VALU_DEP_1)
	v_add_min_i32_e64 v9, v11, 8, v4
	v_dual_sub_nc_u32 v17, v9, v11 :: v_dual_min_i32 v7, v4, v17
	s_delay_alu instid0(VALU_DEP_1) | instskip(SKIP_4) | instid1(VALU_DEP_1)
	v_sub_nc_u32_e32 v18, v7, v17
	s_wait_dscnt 0x0
	v_cmp_lt_i16_e64 s1, v16, v15
	s_or_b32 s1, s0, s1
	v_cmp_ge_i32_e64 s0, v7, v17
	v_dual_sub_nc_u32 v10, v11, v13 :: v_dual_cndmask_b32 v8, 0, v18, s0
	s_and_b32 s0, s2, s1
	s_delay_alu instid0(VALU_DEP_1)
	v_min_i32_e32 v12, v7, v10
	v_cndmask_b32_e64 v14, v15, v16, s0
	v_lshl_add_u32 v10, v13, 1, v1
	s_mov_b32 s1, exec_lo
	ds_store_b16 v5, v14
	; wave barrier
	v_cmpx_lt_i32_e64 v8, v12
	s_cbranch_execz .LBB7_18
; %bb.15:
	v_lshlrev_b32_e32 v14, 1, v11
	v_lshlrev_b32_e32 v15, 1, v7
	s_delay_alu instid0(VALU_DEP_1)
	v_add3_u32 v14, v1, v14, v15
.LBB7_16:                               ; =>This Inner Loop Header: Depth=1
	v_sub_nc_u32_e32 v15, v12, v8
	s_delay_alu instid0(VALU_DEP_1) | instskip(NEXT) | instid1(VALU_DEP_1)
	v_lshrrev_b32_e32 v15, 1, v15
	v_add_nc_u32_e32 v15, v15, v8
	s_delay_alu instid0(VALU_DEP_1) | instskip(SKIP_1) | instid1(VALU_DEP_2)
	v_not_b32_e32 v16, v15
	v_lshl_add_u32 v17, v15, 1, v10
	v_lshl_add_u32 v16, v16, 1, v14
	ds_load_u16 v17, v17
	ds_load_u16 v16, v16
	s_wait_dscnt 0x0
	v_cmp_lt_i16_e64 s0, v16, v17
	s_delay_alu instid0(VALU_DEP_1) | instskip(NEXT) | instid1(VALU_DEP_1)
	v_dual_add_nc_u32 v18, 1, v15 :: v_dual_cndmask_b32 v12, v12, v15, s0
	v_cndmask_b32_e64 v8, v18, v8, s0
	s_delay_alu instid0(VALU_DEP_1) | instskip(SKIP_1) | instid1(SALU_CYCLE_1)
	v_cmp_ge_i32_e64 s0, v8, v12
	s_or_b32 s3, s0, s3
	s_and_not1_b32 exec_lo, exec_lo, s3
	s_cbranch_execnz .LBB7_16
; %bb.17:
	s_or_b32 exec_lo, exec_lo, s3
.LBB7_18:
	s_delay_alu instid0(SALU_CYCLE_1) | instskip(SKIP_2) | instid1(VALU_DEP_1)
	s_or_b32 exec_lo, exec_lo, s1
	v_add_nc_u32_e32 v7, v11, v7
	s_mov_b32 s3, 0
	v_dual_sub_nc_u32 v14, v7, v8 :: v_dual_min_i32 v6, v4, v6
	v_lshl_add_u32 v7, v8, 1, v10
	v_add_nc_u32_e32 v8, v8, v13
	s_delay_alu instid0(VALU_DEP_3) | instskip(SKIP_1) | instid1(VALU_DEP_3)
	v_lshl_add_u32 v10, v14, 1, v1
	v_cmp_gt_i32_e64 s2, v9, v14
	v_cmp_le_i32_e64 s0, v11, v8
	ds_load_u16 v15, v7
	ds_load_u16 v16, v10
	v_min_i32_e32 v7, 0, v4
	; wave barrier
	v_lshlrev_b32_e32 v9, 1, v6
	s_delay_alu instid0(VALU_DEP_2) | instskip(NEXT) | instid1(VALU_DEP_1)
	v_add_min_i32_e64 v12, v7, 16, v4
	v_add_min_i32_e64 v10, v12, 16, v4
	s_delay_alu instid0(VALU_DEP_1) | instskip(SKIP_2) | instid1(VALU_DEP_2)
	v_sub_nc_u32_e32 v13, v10, v12
	s_wait_dscnt 0x0
	v_cmp_lt_i16_e64 s1, v16, v15
	v_dual_sub_nc_u32 v17, v6, v13 :: v_dual_sub_nc_u32 v11, v12, v7
	v_lshl_add_u32 v8, v7, 1, v1
	s_or_b32 s1, s0, s1
	v_cmp_ge_i32_e64 s0, v6, v13
	s_delay_alu instid0(VALU_DEP_1)
	v_dual_cndmask_b32 v13, 0, v17, s0 :: v_dual_min_i32 v11, v6, v11
	s_and_b32 s0, s2, s1
	s_mov_b32 s1, exec_lo
	v_cndmask_b32_e64 v14, v15, v16, s0
	ds_store_b16 v5, v14
	; wave barrier
	v_cmpx_lt_i32_e64 v13, v11
	s_cbranch_execz .LBB7_22
; %bb.19:
	v_lshlrev_b32_e32 v14, 1, v12
	s_delay_alu instid0(VALU_DEP_1)
	v_add3_u32 v14, v1, v14, v9
.LBB7_20:                               ; =>This Inner Loop Header: Depth=1
	v_sub_nc_u32_e32 v15, v11, v13
	s_delay_alu instid0(VALU_DEP_1) | instskip(NEXT) | instid1(VALU_DEP_1)
	v_lshrrev_b32_e32 v15, 1, v15
	v_add_nc_u32_e32 v15, v15, v13
	s_delay_alu instid0(VALU_DEP_1) | instskip(SKIP_1) | instid1(VALU_DEP_2)
	v_not_b32_e32 v16, v15
	v_lshl_add_u32 v17, v15, 1, v8
	v_lshl_add_u32 v16, v16, 1, v14
	ds_load_u16 v17, v17
	ds_load_u16 v16, v16
	s_wait_dscnt 0x0
	v_cmp_lt_i16_e64 s0, v16, v17
	s_delay_alu instid0(VALU_DEP_1) | instskip(NEXT) | instid1(VALU_DEP_1)
	v_dual_add_nc_u32 v18, 1, v15 :: v_dual_cndmask_b32 v11, v11, v15, s0
	v_cndmask_b32_e64 v13, v18, v13, s0
	s_delay_alu instid0(VALU_DEP_1) | instskip(SKIP_1) | instid1(SALU_CYCLE_1)
	v_cmp_ge_i32_e64 s0, v13, v11
	s_or_b32 s3, s0, s3
	s_and_not1_b32 exec_lo, exec_lo, s3
	s_cbranch_execnz .LBB7_20
; %bb.21:
	s_or_b32 exec_lo, exec_lo, s3
.LBB7_22:
	s_delay_alu instid0(SALU_CYCLE_1) | instskip(SKIP_1) | instid1(VALU_DEP_1)
	s_or_b32 exec_lo, exec_lo, s1
	v_add_nc_u32_e32 v11, v12, v6
	v_sub_nc_u32_e32 v14, v11, v13
	v_lshl_add_u32 v11, v13, 1, v8
	v_add_nc_u32_e32 v13, v13, v7
	s_delay_alu instid0(VALU_DEP_3) | instskip(SKIP_4) | instid1(VALU_DEP_2)
	v_lshl_add_u32 v15, v14, 1, v1
	ds_load_u16 v16, v11
	ds_load_u16 v15, v15
	v_add_min_i32_e64 v11, v7, 32, v4
	v_cmp_le_i32_e64 s0, v12, v13
	; wave barrier
	v_add_min_i32_e64 v4, v11, 32, v4
	s_delay_alu instid0(VALU_DEP_1) | instskip(SKIP_2) | instid1(VALU_DEP_3)
	v_sub_nc_u32_e32 v17, v4, v11
	v_sub_nc_u32_e32 v12, v11, v7
	v_cmp_gt_i32_e64 s2, v10, v14
	v_sub_nc_u32_e32 v13, v6, v17
	s_wait_dscnt 0x0
	v_cmp_lt_i16_e64 s1, v15, v16
	s_or_b32 s1, s0, s1
	v_cmp_ge_i32_e64 s0, v6, v17
	s_delay_alu instid0(VALU_DEP_1)
	v_dual_cndmask_b32 v10, 0, v13, s0 :: v_dual_min_i32 v12, v6, v12
	s_and_b32 s0, s2, s1
	s_mov_b32 s1, 0
	v_cndmask_b32_e64 v13, v16, v15, s0
	s_mov_b32 s2, exec_lo
	ds_store_b16 v5, v13
	; wave barrier
	v_cmpx_lt_i32_e64 v10, v12
	s_cbranch_execnz .LBB7_25
; %bb.23:
	s_or_b32 exec_lo, exec_lo, s2
	s_and_saveexec_b32 s0, vcc_lo
	s_cbranch_execnz .LBB7_28
.LBB7_24:
	s_endpgm
.LBB7_25:
	v_lshlrev_b32_e32 v5, 1, v11
	s_delay_alu instid0(VALU_DEP_1)
	v_add3_u32 v5, v1, v5, v9
.LBB7_26:                               ; =>This Inner Loop Header: Depth=1
	v_sub_nc_u32_e32 v9, v12, v10
	s_delay_alu instid0(VALU_DEP_1) | instskip(NEXT) | instid1(VALU_DEP_1)
	v_lshrrev_b32_e32 v9, 1, v9
	v_add_nc_u32_e32 v9, v9, v10
	s_delay_alu instid0(VALU_DEP_1) | instskip(SKIP_1) | instid1(VALU_DEP_2)
	v_not_b32_e32 v13, v9
	v_lshl_add_u32 v14, v9, 1, v8
	v_lshl_add_u32 v13, v13, 1, v5
	ds_load_u16 v14, v14
	ds_load_u16 v13, v13
	s_wait_dscnt 0x0
	v_cmp_lt_i16_e64 s0, v13, v14
	s_delay_alu instid0(VALU_DEP_1) | instskip(NEXT) | instid1(VALU_DEP_1)
	v_dual_add_nc_u32 v15, 1, v9 :: v_dual_cndmask_b32 v12, v12, v9, s0
	v_cndmask_b32_e64 v10, v15, v10, s0
	s_delay_alu instid0(VALU_DEP_1) | instskip(SKIP_1) | instid1(SALU_CYCLE_1)
	v_cmp_ge_i32_e64 s0, v10, v12
	s_or_b32 s1, s0, s1
	s_and_not1_b32 exec_lo, exec_lo, s1
	s_cbranch_execnz .LBB7_26
; %bb.27:
	s_or_b32 exec_lo, exec_lo, s1
	s_delay_alu instid0(SALU_CYCLE_1)
	s_or_b32 exec_lo, exec_lo, s2
	s_and_saveexec_b32 s0, vcc_lo
	s_cbranch_execz .LBB7_24
.LBB7_28:
	v_add_nc_u32_e32 v5, v11, v6
	v_lshl_add_u32 v6, v10, 1, v8
	s_delay_alu instid0(VALU_DEP_2) | instskip(NEXT) | instid1(VALU_DEP_1)
	v_sub_nc_u32_e32 v5, v5, v10
	v_lshl_add_u32 v1, v5, 1, v1
	ds_load_u16 v8, v1
	ds_load_u16 v6, v6
	v_add_nc_u32_e32 v1, v10, v7
	s_delay_alu instid0(VALU_DEP_1) | instskip(SKIP_2) | instid1(VALU_DEP_2)
	v_cmp_le_i32_e32 vcc_lo, v11, v1
	v_mov_b32_e32 v1, 0
	v_cmp_gt_i32_e64 s1, v4, v5
	v_add_nc_u64_e32 v[0:1], v[2:3], v[0:1]
	s_wait_dscnt 0x0
	v_cmp_lt_i16_e64 s0, v8, v6
	s_or_b32 s0, vcc_lo, s0
	s_delay_alu instid0(SALU_CYCLE_1)
	s_and_b32 vcc_lo, s1, s0
	v_cndmask_b32_e32 v2, v6, v8, vcc_lo
	global_store_b16 v[0:1], v2, off
	s_endpgm
	.section	.rodata,"a",@progbits
	.p2align	6, 0x0
	.amdhsa_kernel _Z19sort_keys_segmentedILj512ELj64ELj1ELb0EsN10test_utils4lessEEvPT3_PKjT4_
		.amdhsa_group_segment_fixed_size 1040
		.amdhsa_private_segment_fixed_size 0
		.amdhsa_kernarg_size 20
		.amdhsa_user_sgpr_count 2
		.amdhsa_user_sgpr_dispatch_ptr 0
		.amdhsa_user_sgpr_queue_ptr 0
		.amdhsa_user_sgpr_kernarg_segment_ptr 1
		.amdhsa_user_sgpr_dispatch_id 0
		.amdhsa_user_sgpr_kernarg_preload_length 0
		.amdhsa_user_sgpr_kernarg_preload_offset 0
		.amdhsa_user_sgpr_private_segment_size 0
		.amdhsa_wavefront_size32 1
		.amdhsa_uses_dynamic_stack 0
		.amdhsa_enable_private_segment 0
		.amdhsa_system_sgpr_workgroup_id_x 1
		.amdhsa_system_sgpr_workgroup_id_y 0
		.amdhsa_system_sgpr_workgroup_id_z 0
		.amdhsa_system_sgpr_workgroup_info 0
		.amdhsa_system_vgpr_workitem_id 0
		.amdhsa_next_free_vgpr 19
		.amdhsa_next_free_sgpr 7
		.amdhsa_named_barrier_count 0
		.amdhsa_reserve_vcc 1
		.amdhsa_float_round_mode_32 0
		.amdhsa_float_round_mode_16_64 0
		.amdhsa_float_denorm_mode_32 3
		.amdhsa_float_denorm_mode_16_64 3
		.amdhsa_fp16_overflow 0
		.amdhsa_memory_ordered 1
		.amdhsa_forward_progress 1
		.amdhsa_inst_pref_size 19
		.amdhsa_round_robin_scheduling 0
		.amdhsa_exception_fp_ieee_invalid_op 0
		.amdhsa_exception_fp_denorm_src 0
		.amdhsa_exception_fp_ieee_div_zero 0
		.amdhsa_exception_fp_ieee_overflow 0
		.amdhsa_exception_fp_ieee_underflow 0
		.amdhsa_exception_fp_ieee_inexact 0
		.amdhsa_exception_int_div_zero 0
	.end_amdhsa_kernel
	.section	.text._Z19sort_keys_segmentedILj512ELj64ELj1ELb0EsN10test_utils4lessEEvPT3_PKjT4_,"axG",@progbits,_Z19sort_keys_segmentedILj512ELj64ELj1ELb0EsN10test_utils4lessEEvPT3_PKjT4_,comdat
.Lfunc_end7:
	.size	_Z19sort_keys_segmentedILj512ELj64ELj1ELb0EsN10test_utils4lessEEvPT3_PKjT4_, .Lfunc_end7-_Z19sort_keys_segmentedILj512ELj64ELj1ELb0EsN10test_utils4lessEEvPT3_PKjT4_
                                        ; -- End function
	.set _Z19sort_keys_segmentedILj512ELj64ELj1ELb0EsN10test_utils4lessEEvPT3_PKjT4_.num_vgpr, 19
	.set _Z19sort_keys_segmentedILj512ELj64ELj1ELb0EsN10test_utils4lessEEvPT3_PKjT4_.num_agpr, 0
	.set _Z19sort_keys_segmentedILj512ELj64ELj1ELb0EsN10test_utils4lessEEvPT3_PKjT4_.numbered_sgpr, 7
	.set _Z19sort_keys_segmentedILj512ELj64ELj1ELb0EsN10test_utils4lessEEvPT3_PKjT4_.num_named_barrier, 0
	.set _Z19sort_keys_segmentedILj512ELj64ELj1ELb0EsN10test_utils4lessEEvPT3_PKjT4_.private_seg_size, 0
	.set _Z19sort_keys_segmentedILj512ELj64ELj1ELb0EsN10test_utils4lessEEvPT3_PKjT4_.uses_vcc, 1
	.set _Z19sort_keys_segmentedILj512ELj64ELj1ELb0EsN10test_utils4lessEEvPT3_PKjT4_.uses_flat_scratch, 0
	.set _Z19sort_keys_segmentedILj512ELj64ELj1ELb0EsN10test_utils4lessEEvPT3_PKjT4_.has_dyn_sized_stack, 0
	.set _Z19sort_keys_segmentedILj512ELj64ELj1ELb0EsN10test_utils4lessEEvPT3_PKjT4_.has_recursion, 0
	.set _Z19sort_keys_segmentedILj512ELj64ELj1ELb0EsN10test_utils4lessEEvPT3_PKjT4_.has_indirect_call, 0
	.section	.AMDGPU.csdata,"",@progbits
; Kernel info:
; codeLenInByte = 2372
; TotalNumSgprs: 9
; NumVgprs: 19
; ScratchSize: 0
; MemoryBound: 0
; FloatMode: 240
; IeeeMode: 1
; LDSByteSize: 1040 bytes/workgroup (compile time only)
; SGPRBlocks: 0
; VGPRBlocks: 1
; NumSGPRsForWavesPerEU: 9
; NumVGPRsForWavesPerEU: 19
; NamedBarCnt: 0
; Occupancy: 16
; WaveLimiterHint : 0
; COMPUTE_PGM_RSRC2:SCRATCH_EN: 0
; COMPUTE_PGM_RSRC2:USER_SGPR: 2
; COMPUTE_PGM_RSRC2:TRAP_HANDLER: 0
; COMPUTE_PGM_RSRC2:TGID_X_EN: 1
; COMPUTE_PGM_RSRC2:TGID_Y_EN: 0
; COMPUTE_PGM_RSRC2:TGID_Z_EN: 0
; COMPUTE_PGM_RSRC2:TIDIG_COMP_CNT: 0
	.section	.text._Z19sort_keys_segmentedILj32ELj32ELj1ELb0EdN10test_utils4lessEEvPT3_PKjT4_,"axG",@progbits,_Z19sort_keys_segmentedILj32ELj32ELj1ELb0EdN10test_utils4lessEEvPT3_PKjT4_,comdat
	.protected	_Z19sort_keys_segmentedILj32ELj32ELj1ELb0EdN10test_utils4lessEEvPT3_PKjT4_ ; -- Begin function _Z19sort_keys_segmentedILj32ELj32ELj1ELb0EdN10test_utils4lessEEvPT3_PKjT4_
	.globl	_Z19sort_keys_segmentedILj32ELj32ELj1ELb0EdN10test_utils4lessEEvPT3_PKjT4_
	.p2align	8
	.type	_Z19sort_keys_segmentedILj32ELj32ELj1ELb0EdN10test_utils4lessEEvPT3_PKjT4_,@function
_Z19sort_keys_segmentedILj32ELj32ELj1ELb0EdN10test_utils4lessEEvPT3_PKjT4_: ; @_Z19sort_keys_segmentedILj32ELj32ELj1ELb0EdN10test_utils4lessEEvPT3_PKjT4_
; %bb.0:
	s_load_b128 s[0:3], s[0:1], 0x0
	s_bfe_u32 s4, ttmp6, 0x4000c
	s_and_b32 s5, ttmp6, 15
	s_add_co_i32 s4, s4, 1
	s_getreg_b32 s6, hwreg(HW_REG_IB_STS2, 6, 4)
	s_mul_i32 s4, ttmp9, s4
	v_mbcnt_lo_u32_b32 v5, -1, 0
	s_add_co_i32 s5, s5, s4
	s_cmp_eq_u32 s6, 0
                                        ; implicit-def: $vgpr2_vgpr3
	v_mov_b32_e32 v1, 0
	s_cselect_b32 s4, ttmp9, s5
	s_delay_alu instid0(SALU_CYCLE_1)
	v_mov_b32_e32 v0, s4
	s_wait_kmcnt 0x0
	global_load_b32 v4, v0, s[2:3] scale_offset
	s_wait_xcnt 0x0
	s_mov_b32 s3, 0
	s_lshl_b32 s2, s4, 5
	v_lshlrev_b32_e32 v0, 3, v5
	s_lshl_b64 s[2:3], s[2:3], 3
	s_delay_alu instid0(SALU_CYCLE_1)
	s_add_nc_u64 s[4:5], s[0:1], s[2:3]
	s_wait_loadcnt 0x0
	v_cmp_lt_u32_e32 vcc_lo, v5, v4
	s_and_saveexec_b32 s0, vcc_lo
	s_cbranch_execz .LBB8_2
; %bb.1:
	v_add_nc_u64_e32 v[2:3], s[4:5], v[0:1]
	global_load_b64 v[2:3], v[2:3], off
.LBB8_2:
	s_wait_xcnt 0x0
	s_or_b32 exec_lo, exec_lo, s0
	v_and_b32_e32 v1, 30, v5
	s_mov_b32 s1, exec_lo
	; wave barrier
	s_wait_loadcnt 0x0
	ds_store_b64 v0, v[2:3]
	v_min_i32_e32 v9, v4, v1
	v_and_b32_e32 v1, 1, v5
	; wave barrier
	s_delay_alu instid0(VALU_DEP_2) | instskip(NEXT) | instid1(VALU_DEP_2)
	v_add_min_i32_e64 v8, v9, 1, v4
	v_min_i32_e32 v1, v4, v1
	s_delay_alu instid0(VALU_DEP_2) | instskip(NEXT) | instid1(VALU_DEP_1)
	v_add_min_i32_e64 v6, v8, 1, v4
	v_sub_nc_u32_e32 v7, v6, v8
	s_delay_alu instid0(VALU_DEP_1) | instskip(SKIP_1) | instid1(VALU_DEP_2)
	v_dual_sub_nc_u32 v10, v1, v7 :: v_dual_sub_nc_u32 v11, v8, v9
	v_cmp_ge_i32_e64 s0, v1, v7
	v_dual_lshlrev_b32 v7, 3, v9 :: v_dual_min_i32 v11, v1, v11
	s_delay_alu instid0(VALU_DEP_2) | instskip(NEXT) | instid1(VALU_DEP_1)
	v_cndmask_b32_e64 v10, 0, v10, s0
	v_cmpx_lt_i32_e64 v10, v11
	s_cbranch_execz .LBB8_6
; %bb.3:
	v_lshlrev_b32_e32 v2, 3, v1
	s_mov_b32 s2, 0
	s_delay_alu instid0(VALU_DEP_1)
	v_lshl_add_u32 v2, v8, 3, v2
.LBB8_4:                                ; =>This Inner Loop Header: Depth=1
	v_sub_nc_u32_e32 v3, v11, v10
	s_delay_alu instid0(VALU_DEP_1) | instskip(NEXT) | instid1(VALU_DEP_1)
	v_lshrrev_b32_e32 v3, 1, v3
	v_add_nc_u32_e32 v3, v3, v10
	s_delay_alu instid0(VALU_DEP_1) | instskip(SKIP_1) | instid1(VALU_DEP_2)
	v_not_b32_e32 v12, v3
	v_lshl_add_u32 v13, v3, 3, v7
	v_lshl_add_u32 v14, v12, 3, v2
	ds_load_b64 v[12:13], v13
	ds_load_b64 v[14:15], v14
	s_wait_dscnt 0x0
	v_cmp_lt_f64_e64 s0, v[14:15], v[12:13]
	s_delay_alu instid0(VALU_DEP_1) | instskip(NEXT) | instid1(VALU_DEP_1)
	v_dual_add_nc_u32 v12, 1, v3 :: v_dual_cndmask_b32 v11, v11, v3, s0
	v_cndmask_b32_e64 v10, v12, v10, s0
	s_delay_alu instid0(VALU_DEP_1) | instskip(SKIP_1) | instid1(SALU_CYCLE_1)
	v_cmp_ge_i32_e64 s0, v10, v11
	s_or_b32 s2, s0, s2
	s_and_not1_b32 exec_lo, exec_lo, s2
	s_cbranch_execnz .LBB8_4
; %bb.5:
	s_or_b32 exec_lo, exec_lo, s2
.LBB8_6:
	s_delay_alu instid0(SALU_CYCLE_1) | instskip(SKIP_3) | instid1(VALU_DEP_2)
	s_or_b32 exec_lo, exec_lo, s1
	v_add_nc_u32_e32 v1, v8, v1
	v_add_nc_u32_e32 v9, v10, v9
	s_mov_b32 s3, 0
	v_sub_nc_u32_e32 v11, v1, v10
	v_lshl_add_u32 v1, v10, 3, v7
	s_delay_alu instid0(VALU_DEP_2) | instskip(SKIP_4) | instid1(VALU_DEP_2)
	v_lshlrev_b32_e32 v2, 3, v11
	ds_load_b64 v[12:13], v1
	ds_load_b64 v[14:15], v2
	v_and_b32_e32 v1, 28, v5
	v_cmp_gt_i32_e64 s2, v6, v11
	; wave barrier
	v_min_i32_e32 v7, v4, v1
	s_delay_alu instid0(VALU_DEP_1) | instskip(NEXT) | instid1(VALU_DEP_1)
	v_add_min_i32_e64 v3, v7, 2, v4
	v_add_min_i32_e64 v1, v3, 2, v4
	s_wait_dscnt 0x0
	v_cmp_lt_f64_e64 s0, v[14:15], v[12:13]
	s_delay_alu instid0(VALU_DEP_2) | instskip(SKIP_1) | instid1(VALU_DEP_2)
	v_dual_sub_nc_u32 v10, v1, v3 :: v_dual_bitop2_b32 v2, 3, v5 bitop3:0x40
	v_dual_sub_nc_u32 v16, v3, v7 :: v_dual_lshlrev_b32 v6, 3, v7
	v_min_i32_e32 v2, v4, v2
	v_cmp_le_i32_e64 s1, v8, v9
	s_delay_alu instid0(VALU_DEP_2) | instskip(SKIP_2) | instid1(VALU_DEP_1)
	v_dual_sub_nc_u32 v9, v2, v10 :: v_dual_min_i32 v8, v2, v16
	s_or_b32 s1, s1, s0
	v_cmp_ge_i32_e64 s0, v2, v10
	v_cndmask_b32_e64 v9, 0, v9, s0
	s_and_b32 s0, s2, s1
	s_mov_b32 s1, exec_lo
	v_dual_cndmask_b32 v11, v13, v15, s0 :: v_dual_cndmask_b32 v10, v12, v14, s0
	ds_store_b64 v0, v[10:11]
	; wave barrier
	v_cmpx_lt_i32_e64 v9, v8
	s_cbranch_execz .LBB8_10
; %bb.7:
	v_lshlrev_b32_e32 v10, 3, v2
	s_delay_alu instid0(VALU_DEP_1)
	v_lshl_add_u32 v10, v3, 3, v10
.LBB8_8:                                ; =>This Inner Loop Header: Depth=1
	v_sub_nc_u32_e32 v11, v8, v9
	s_delay_alu instid0(VALU_DEP_1) | instskip(NEXT) | instid1(VALU_DEP_1)
	v_lshrrev_b32_e32 v11, 1, v11
	v_add_nc_u32_e32 v11, v11, v9
	s_delay_alu instid0(VALU_DEP_1) | instskip(SKIP_1) | instid1(VALU_DEP_2)
	v_not_b32_e32 v12, v11
	v_lshl_add_u32 v13, v11, 3, v6
	v_lshl_add_u32 v14, v12, 3, v10
	ds_load_b64 v[12:13], v13
	ds_load_b64 v[14:15], v14
	s_wait_dscnt 0x0
	v_cmp_lt_f64_e64 s0, v[14:15], v[12:13]
	s_delay_alu instid0(VALU_DEP_1) | instskip(NEXT) | instid1(VALU_DEP_1)
	v_dual_add_nc_u32 v12, 1, v11 :: v_dual_cndmask_b32 v8, v8, v11, s0
	v_cndmask_b32_e64 v9, v12, v9, s0
	s_delay_alu instid0(VALU_DEP_1) | instskip(SKIP_1) | instid1(SALU_CYCLE_1)
	v_cmp_ge_i32_e64 s0, v9, v8
	s_or_b32 s3, s0, s3
	s_and_not1_b32 exec_lo, exec_lo, s3
	s_cbranch_execnz .LBB8_8
; %bb.9:
	s_or_b32 exec_lo, exec_lo, s3
.LBB8_10:
	s_delay_alu instid0(SALU_CYCLE_1) | instskip(SKIP_2) | instid1(VALU_DEP_1)
	s_or_b32 exec_lo, exec_lo, s1
	v_dual_add_nc_u32 v2, v3, v2 :: v_dual_bitop2_b32 v15, 7, v5 bitop3:0x40
	s_mov_b32 s3, 0
	v_sub_nc_u32_e32 v14, v2, v9
	v_lshl_add_u32 v2, v9, 3, v6
	s_delay_alu instid0(VALU_DEP_2) | instskip(SKIP_3) | instid1(VALU_DEP_1)
	v_lshlrev_b32_e32 v6, 3, v14
	ds_load_b64 v[10:11], v2
	ds_load_b64 v[12:13], v6
	v_and_b32_e32 v2, 24, v5
	; wave barrier
	v_min_i32_e32 v8, v4, v2
	v_cmp_gt_i32_e64 s2, v1, v14
	s_delay_alu instid0(VALU_DEP_2) | instskip(SKIP_1) | instid1(VALU_DEP_2)
	v_add_min_i32_e64 v6, v8, 4, v4
	v_lshlrev_b32_e32 v1, 3, v8
	v_add_min_i32_e64 v2, v6, 4, v4
	v_add_nc_u32_e32 v9, v9, v7
	v_dual_sub_nc_u32 v16, v6, v8 :: v_dual_min_i32 v7, v4, v15
	s_wait_dscnt 0x0
	v_cmp_lt_f64_e64 s0, v[12:13], v[10:11]
	v_sub_nc_u32_e32 v15, v2, v6
	v_cmp_le_i32_e64 s1, v3, v9
	s_delay_alu instid0(VALU_DEP_2) | instskip(SKIP_2) | instid1(VALU_DEP_1)
	v_dual_sub_nc_u32 v9, v7, v15 :: v_dual_min_i32 v3, v7, v16
	s_or_b32 s1, s1, s0
	v_cmp_ge_i32_e64 s0, v7, v15
	v_cndmask_b32_e64 v9, 0, v9, s0
	s_and_b32 s0, s2, s1
	s_mov_b32 s1, exec_lo
	v_dual_cndmask_b32 v11, v11, v13, s0 :: v_dual_cndmask_b32 v10, v10, v12, s0
	ds_store_b64 v0, v[10:11]
	; wave barrier
	v_cmpx_lt_i32_e64 v9, v3
	s_cbranch_execz .LBB8_14
; %bb.11:
	v_lshlrev_b32_e32 v10, 3, v7
	s_delay_alu instid0(VALU_DEP_1)
	v_lshl_add_u32 v10, v6, 3, v10
.LBB8_12:                               ; =>This Inner Loop Header: Depth=1
	v_sub_nc_u32_e32 v11, v3, v9
	s_delay_alu instid0(VALU_DEP_1) | instskip(NEXT) | instid1(VALU_DEP_1)
	v_lshrrev_b32_e32 v11, 1, v11
	v_add_nc_u32_e32 v11, v11, v9
	s_delay_alu instid0(VALU_DEP_1) | instskip(SKIP_1) | instid1(VALU_DEP_2)
	v_not_b32_e32 v12, v11
	v_lshl_add_u32 v13, v11, 3, v1
	v_lshl_add_u32 v14, v12, 3, v10
	ds_load_b64 v[12:13], v13
	ds_load_b64 v[14:15], v14
	s_wait_dscnt 0x0
	v_cmp_lt_f64_e64 s0, v[14:15], v[12:13]
	s_delay_alu instid0(VALU_DEP_1) | instskip(NEXT) | instid1(VALU_DEP_1)
	v_dual_add_nc_u32 v12, 1, v11 :: v_dual_cndmask_b32 v3, v3, v11, s0
	v_cndmask_b32_e64 v9, v12, v9, s0
	s_delay_alu instid0(VALU_DEP_1) | instskip(SKIP_1) | instid1(SALU_CYCLE_1)
	v_cmp_ge_i32_e64 s0, v9, v3
	s_or_b32 s3, s0, s3
	s_and_not1_b32 exec_lo, exec_lo, s3
	s_cbranch_execnz .LBB8_12
; %bb.13:
	s_or_b32 exec_lo, exec_lo, s3
.LBB8_14:
	s_delay_alu instid0(SALU_CYCLE_1) | instskip(SKIP_3) | instid1(VALU_DEP_2)
	s_or_b32 exec_lo, exec_lo, s1
	v_add_nc_u32_e32 v3, v6, v7
	v_lshl_add_u32 v1, v9, 3, v1
	s_mov_b32 s3, 0
	v_dual_sub_nc_u32 v14, v3, v9 :: v_dual_add_nc_u32 v9, v9, v8
	s_delay_alu instid0(VALU_DEP_1) | instskip(NEXT) | instid1(VALU_DEP_2)
	v_lshlrev_b32_e32 v3, 3, v14
	v_cmp_le_i32_e64 s1, v6, v9
	v_cmp_gt_i32_e64 s2, v2, v14
	ds_load_b64 v[10:11], v1
	ds_load_b64 v[12:13], v3
	v_and_b32_e32 v1, 16, v5
	; wave barrier
	s_delay_alu instid0(VALU_DEP_1) | instskip(NEXT) | instid1(VALU_DEP_1)
	v_min_i32_e32 v7, v4, v1
	v_add_min_i32_e64 v3, v7, 8, v4
	v_dual_lshlrev_b32 v2, 3, v7 :: v_dual_bitop2_b32 v15, 15, v5 bitop3:0x40
	s_delay_alu instid0(VALU_DEP_2) | instskip(SKIP_1) | instid1(VALU_DEP_3)
	v_add_min_i32_e64 v1, v3, 8, v4
	v_sub_nc_u32_e32 v16, v3, v7
	v_min_i32_e32 v8, v4, v15
	s_wait_dscnt 0x0
	v_cmp_lt_f64_e64 s0, v[12:13], v[10:11]
	v_sub_nc_u32_e32 v15, v1, v3
	s_delay_alu instid0(VALU_DEP_1) | instskip(SKIP_2) | instid1(VALU_DEP_1)
	v_sub_nc_u32_e32 v9, v8, v15
	s_or_b32 s1, s1, s0
	v_cmp_ge_i32_e64 s0, v8, v15
	v_cndmask_b32_e64 v9, 0, v9, s0
	s_and_b32 s0, s2, s1
	s_delay_alu instid0(SALU_CYCLE_1)
	v_dual_cndmask_b32 v11, v11, v13, s0 :: v_dual_min_i32 v6, v8, v16
	v_cndmask_b32_e64 v10, v10, v12, s0
	s_mov_b32 s1, exec_lo
	ds_store_b64 v0, v[10:11]
	; wave barrier
	v_cmpx_lt_i32_e64 v9, v6
	s_cbranch_execz .LBB8_18
; %bb.15:
	v_lshlrev_b32_e32 v10, 3, v8
	s_delay_alu instid0(VALU_DEP_1)
	v_lshl_add_u32 v10, v3, 3, v10
.LBB8_16:                               ; =>This Inner Loop Header: Depth=1
	v_sub_nc_u32_e32 v11, v6, v9
	s_delay_alu instid0(VALU_DEP_1) | instskip(NEXT) | instid1(VALU_DEP_1)
	v_lshrrev_b32_e32 v11, 1, v11
	v_add_nc_u32_e32 v11, v11, v9
	s_delay_alu instid0(VALU_DEP_1) | instskip(SKIP_1) | instid1(VALU_DEP_2)
	v_not_b32_e32 v12, v11
	v_lshl_add_u32 v13, v11, 3, v2
	v_lshl_add_u32 v14, v12, 3, v10
	ds_load_b64 v[12:13], v13
	ds_load_b64 v[14:15], v14
	s_wait_dscnt 0x0
	v_cmp_lt_f64_e64 s0, v[14:15], v[12:13]
	s_delay_alu instid0(VALU_DEP_1) | instskip(NEXT) | instid1(VALU_DEP_1)
	v_dual_add_nc_u32 v12, 1, v11 :: v_dual_cndmask_b32 v6, v6, v11, s0
	v_cndmask_b32_e64 v9, v12, v9, s0
	s_delay_alu instid0(VALU_DEP_1) | instskip(SKIP_1) | instid1(SALU_CYCLE_1)
	v_cmp_ge_i32_e64 s0, v9, v6
	s_or_b32 s3, s0, s3
	s_and_not1_b32 exec_lo, exec_lo, s3
	s_cbranch_execnz .LBB8_16
; %bb.17:
	s_or_b32 exec_lo, exec_lo, s3
.LBB8_18:
	s_delay_alu instid0(SALU_CYCLE_1) | instskip(SKIP_3) | instid1(VALU_DEP_2)
	s_or_b32 exec_lo, exec_lo, s1
	v_dual_add_nc_u32 v6, v3, v8 :: v_dual_add_nc_u32 v7, v9, v7
	v_lshl_add_u32 v2, v9, 3, v2
	s_mov_b32 s3, 0
	v_sub_nc_u32_e32 v14, v6, v9
	s_delay_alu instid0(VALU_DEP_3) | instskip(NEXT) | instid1(VALU_DEP_2)
	v_cmp_le_i32_e64 s1, v3, v7
	v_lshlrev_b32_e32 v6, 3, v14
	ds_load_b64 v[10:11], v2
	ds_load_b64 v[12:13], v6
	v_min_i32_e32 v6, 0, v4
	v_cmp_gt_i32_e64 s2, v1, v14
	; wave barrier
	s_delay_alu instid0(VALU_DEP_2) | instskip(NEXT) | instid1(VALU_DEP_1)
	v_add_min_i32_e64 v8, v6, 16, v4
	v_add_min_i32_e64 v2, v8, 16, v4
	v_min_i32_e32 v4, v4, v5
	s_delay_alu instid0(VALU_DEP_2) | instskip(SKIP_2) | instid1(VALU_DEP_2)
	v_dual_sub_nc_u32 v5, v8, v6 :: v_dual_sub_nc_u32 v9, v2, v8
	s_wait_dscnt 0x0
	v_cmp_lt_f64_e64 s0, v[12:13], v[10:11]
	v_sub_nc_u32_e32 v3, v4, v9
	s_or_b32 s1, s1, s0
	v_cmp_ge_i32_e64 s0, v4, v9
	s_delay_alu instid0(VALU_DEP_1) | instskip(SKIP_1) | instid1(SALU_CYCLE_1)
	v_dual_cndmask_b32 v1, 0, v3, s0 :: v_dual_min_i32 v5, v4, v5
	s_and_b32 s0, s2, s1
	v_dual_lshlrev_b32 v3, 3, v6 :: v_dual_cndmask_b32 v11, v11, v13, s0
	v_cndmask_b32_e64 v10, v10, v12, s0
	s_mov_b32 s1, exec_lo
	ds_store_b64 v0, v[10:11]
	; wave barrier
	v_cmpx_lt_i32_e64 v1, v5
	s_cbranch_execnz .LBB8_21
; %bb.19:
	s_or_b32 exec_lo, exec_lo, s1
	s_and_saveexec_b32 s0, vcc_lo
	s_cbranch_execnz .LBB8_24
.LBB8_20:
	s_endpgm
.LBB8_21:
	v_lshlrev_b32_e32 v7, 3, v4
	s_delay_alu instid0(VALU_DEP_1)
	v_lshl_add_u32 v7, v8, 3, v7
.LBB8_22:                               ; =>This Inner Loop Header: Depth=1
	v_sub_nc_u32_e32 v9, v5, v1
	s_delay_alu instid0(VALU_DEP_1) | instskip(NEXT) | instid1(VALU_DEP_1)
	v_lshrrev_b32_e32 v9, 1, v9
	v_add_nc_u32_e32 v9, v9, v1
	s_delay_alu instid0(VALU_DEP_1) | instskip(SKIP_1) | instid1(VALU_DEP_2)
	v_not_b32_e32 v10, v9
	v_lshl_add_u32 v11, v9, 3, v3
	v_lshl_add_u32 v12, v10, 3, v7
	ds_load_b64 v[10:11], v11
	ds_load_b64 v[12:13], v12
	s_wait_dscnt 0x0
	v_cmp_lt_f64_e64 s0, v[12:13], v[10:11]
	s_delay_alu instid0(VALU_DEP_1) | instskip(NEXT) | instid1(VALU_DEP_1)
	v_dual_add_nc_u32 v10, 1, v9 :: v_dual_cndmask_b32 v5, v5, v9, s0
	v_cndmask_b32_e64 v1, v10, v1, s0
	s_delay_alu instid0(VALU_DEP_1) | instskip(SKIP_1) | instid1(SALU_CYCLE_1)
	v_cmp_ge_i32_e64 s0, v1, v5
	s_or_b32 s3, s0, s3
	s_and_not1_b32 exec_lo, exec_lo, s3
	s_cbranch_execnz .LBB8_22
; %bb.23:
	s_or_b32 exec_lo, exec_lo, s3
	s_delay_alu instid0(SALU_CYCLE_1)
	s_or_b32 exec_lo, exec_lo, s1
	s_and_saveexec_b32 s0, vcc_lo
	s_cbranch_execz .LBB8_20
.LBB8_24:
	v_add_nc_u32_e32 v4, v8, v4
	v_lshl_add_u32 v3, v1, 3, v3
	s_delay_alu instid0(VALU_DEP_2) | instskip(NEXT) | instid1(VALU_DEP_1)
	v_dual_sub_nc_u32 v7, v4, v1 :: v_dual_add_nc_u32 v1, v1, v6
	v_cmp_le_i32_e64 s0, v8, v1
	s_delay_alu instid0(VALU_DEP_2)
	v_dual_mov_b32 v1, 0 :: v_dual_lshlrev_b32 v4, 3, v7
	v_cmp_gt_i32_e64 s1, v2, v7
	ds_load_b64 v[4:5], v4
	ds_load_b64 v[10:11], v3
	v_add_nc_u64_e32 v[0:1], s[4:5], v[0:1]
	s_wait_dscnt 0x0
	v_cmp_lt_f64_e32 vcc_lo, v[4:5], v[10:11]
	s_or_b32 s0, s0, vcc_lo
	s_delay_alu instid0(SALU_CYCLE_1)
	s_and_b32 vcc_lo, s1, s0
	v_dual_cndmask_b32 v3, v11, v5 :: v_dual_cndmask_b32 v2, v10, v4
	global_store_b64 v[0:1], v[2:3], off
	s_endpgm
	.section	.rodata,"a",@progbits
	.p2align	6, 0x0
	.amdhsa_kernel _Z19sort_keys_segmentedILj32ELj32ELj1ELb0EdN10test_utils4lessEEvPT3_PKjT4_
		.amdhsa_group_segment_fixed_size 264
		.amdhsa_private_segment_fixed_size 0
		.amdhsa_kernarg_size 20
		.amdhsa_user_sgpr_count 2
		.amdhsa_user_sgpr_dispatch_ptr 0
		.amdhsa_user_sgpr_queue_ptr 0
		.amdhsa_user_sgpr_kernarg_segment_ptr 1
		.amdhsa_user_sgpr_dispatch_id 0
		.amdhsa_user_sgpr_kernarg_preload_length 0
		.amdhsa_user_sgpr_kernarg_preload_offset 0
		.amdhsa_user_sgpr_private_segment_size 0
		.amdhsa_wavefront_size32 1
		.amdhsa_uses_dynamic_stack 0
		.amdhsa_enable_private_segment 0
		.amdhsa_system_sgpr_workgroup_id_x 1
		.amdhsa_system_sgpr_workgroup_id_y 0
		.amdhsa_system_sgpr_workgroup_id_z 0
		.amdhsa_system_sgpr_workgroup_info 0
		.amdhsa_system_vgpr_workitem_id 0
		.amdhsa_next_free_vgpr 17
		.amdhsa_next_free_sgpr 7
		.amdhsa_named_barrier_count 0
		.amdhsa_reserve_vcc 1
		.amdhsa_float_round_mode_32 0
		.amdhsa_float_round_mode_16_64 0
		.amdhsa_float_denorm_mode_32 3
		.amdhsa_float_denorm_mode_16_64 3
		.amdhsa_fp16_overflow 0
		.amdhsa_memory_ordered 1
		.amdhsa_forward_progress 1
		.amdhsa_inst_pref_size 16
		.amdhsa_round_robin_scheduling 0
		.amdhsa_exception_fp_ieee_invalid_op 0
		.amdhsa_exception_fp_denorm_src 0
		.amdhsa_exception_fp_ieee_div_zero 0
		.amdhsa_exception_fp_ieee_overflow 0
		.amdhsa_exception_fp_ieee_underflow 0
		.amdhsa_exception_fp_ieee_inexact 0
		.amdhsa_exception_int_div_zero 0
	.end_amdhsa_kernel
	.section	.text._Z19sort_keys_segmentedILj32ELj32ELj1ELb0EdN10test_utils4lessEEvPT3_PKjT4_,"axG",@progbits,_Z19sort_keys_segmentedILj32ELj32ELj1ELb0EdN10test_utils4lessEEvPT3_PKjT4_,comdat
.Lfunc_end8:
	.size	_Z19sort_keys_segmentedILj32ELj32ELj1ELb0EdN10test_utils4lessEEvPT3_PKjT4_, .Lfunc_end8-_Z19sort_keys_segmentedILj32ELj32ELj1ELb0EdN10test_utils4lessEEvPT3_PKjT4_
                                        ; -- End function
	.set _Z19sort_keys_segmentedILj32ELj32ELj1ELb0EdN10test_utils4lessEEvPT3_PKjT4_.num_vgpr, 17
	.set _Z19sort_keys_segmentedILj32ELj32ELj1ELb0EdN10test_utils4lessEEvPT3_PKjT4_.num_agpr, 0
	.set _Z19sort_keys_segmentedILj32ELj32ELj1ELb0EdN10test_utils4lessEEvPT3_PKjT4_.numbered_sgpr, 7
	.set _Z19sort_keys_segmentedILj32ELj32ELj1ELb0EdN10test_utils4lessEEvPT3_PKjT4_.num_named_barrier, 0
	.set _Z19sort_keys_segmentedILj32ELj32ELj1ELb0EdN10test_utils4lessEEvPT3_PKjT4_.private_seg_size, 0
	.set _Z19sort_keys_segmentedILj32ELj32ELj1ELb0EdN10test_utils4lessEEvPT3_PKjT4_.uses_vcc, 1
	.set _Z19sort_keys_segmentedILj32ELj32ELj1ELb0EdN10test_utils4lessEEvPT3_PKjT4_.uses_flat_scratch, 0
	.set _Z19sort_keys_segmentedILj32ELj32ELj1ELb0EdN10test_utils4lessEEvPT3_PKjT4_.has_dyn_sized_stack, 0
	.set _Z19sort_keys_segmentedILj32ELj32ELj1ELb0EdN10test_utils4lessEEvPT3_PKjT4_.has_recursion, 0
	.set _Z19sort_keys_segmentedILj32ELj32ELj1ELb0EdN10test_utils4lessEEvPT3_PKjT4_.has_indirect_call, 0
	.section	.AMDGPU.csdata,"",@progbits
; Kernel info:
; codeLenInByte = 1976
; TotalNumSgprs: 9
; NumVgprs: 17
; ScratchSize: 0
; MemoryBound: 0
; FloatMode: 240
; IeeeMode: 1
; LDSByteSize: 264 bytes/workgroup (compile time only)
; SGPRBlocks: 0
; VGPRBlocks: 1
; NumSGPRsForWavesPerEU: 9
; NumVGPRsForWavesPerEU: 17
; NamedBarCnt: 0
; Occupancy: 16
; WaveLimiterHint : 0
; COMPUTE_PGM_RSRC2:SCRATCH_EN: 0
; COMPUTE_PGM_RSRC2:USER_SGPR: 2
; COMPUTE_PGM_RSRC2:TRAP_HANDLER: 0
; COMPUTE_PGM_RSRC2:TGID_X_EN: 1
; COMPUTE_PGM_RSRC2:TGID_Y_EN: 0
; COMPUTE_PGM_RSRC2:TGID_Z_EN: 0
; COMPUTE_PGM_RSRC2:TIDIG_COMP_CNT: 0
	.section	.text._Z19sort_keys_segmentedILj64ELj16ELj1ELb0EfN10test_utils4lessEEvPT3_PKjT4_,"axG",@progbits,_Z19sort_keys_segmentedILj64ELj16ELj1ELb0EfN10test_utils4lessEEvPT3_PKjT4_,comdat
	.protected	_Z19sort_keys_segmentedILj64ELj16ELj1ELb0EfN10test_utils4lessEEvPT3_PKjT4_ ; -- Begin function _Z19sort_keys_segmentedILj64ELj16ELj1ELb0EfN10test_utils4lessEEvPT3_PKjT4_
	.globl	_Z19sort_keys_segmentedILj64ELj16ELj1ELb0EfN10test_utils4lessEEvPT3_PKjT4_
	.p2align	8
	.type	_Z19sort_keys_segmentedILj64ELj16ELj1ELb0EfN10test_utils4lessEEvPT3_PKjT4_,@function
_Z19sort_keys_segmentedILj64ELj16ELj1ELb0EfN10test_utils4lessEEvPT3_PKjT4_: ; @_Z19sort_keys_segmentedILj64ELj16ELj1ELb0EfN10test_utils4lessEEvPT3_PKjT4_
; %bb.0:
	s_load_b128 s[0:3], s[0:1], 0x0
	s_bfe_u32 s4, ttmp6, 0x4000c
	s_and_b32 s5, ttmp6, 15
	s_add_co_i32 s4, s4, 1
	s_getreg_b32 s6, hwreg(HW_REG_IB_STS2, 6, 4)
	s_mul_i32 s4, ttmp9, s4
	v_dual_mov_b32 v1, 0 :: v_dual_lshrrev_b32 v10, 4, v0
	s_add_co_i32 s5, s5, s4
	s_cmp_eq_u32 s6, 0
	v_mbcnt_lo_u32_b32 v7, -1, 0
	s_cselect_b32 s4, ttmp9, s5
                                        ; implicit-def: $vgpr15
	s_delay_alu instid0(SALU_CYCLE_1) | instskip(NEXT) | instid1(VALU_DEP_2)
	v_lshl_or_b32 v0, s4, 2, v10
	v_and_b32_e32 v5, 15, v7
	s_wait_kmcnt 0x0
	global_load_b32 v4, v0, s[2:3] scale_offset
	s_wait_xcnt 0x0
	v_lshlrev_b32_e32 v0, 4, v0
	s_delay_alu instid0(VALU_DEP_1)
	v_lshl_add_u64 v[2:3], v[0:1], 2, s[0:1]
	v_lshlrev_b32_e32 v0, 2, v5
	s_wait_loadcnt 0x0
	v_cmp_lt_u32_e32 vcc_lo, v5, v4
	s_and_saveexec_b32 s0, vcc_lo
	s_cbranch_execz .LBB9_2
; %bb.1:
	v_add_nc_u64_e32 v[8:9], v[2:3], v[0:1]
	global_load_b32 v15, v[8:9], off
.LBB9_2:
	s_wait_xcnt 0x0
	s_or_b32 exec_lo, exec_lo, s0
	v_and_b32_e32 v1, 14, v7
	s_mov_b32 s1, exec_lo
	; wave barrier
	s_delay_alu instid0(VALU_DEP_1) | instskip(SKIP_1) | instid1(VALU_DEP_2)
	v_min_i32_e32 v13, v4, v1
	v_and_b32_e32 v1, 1, v7
	v_add_min_i32_e64 v12, v13, 1, v4
	s_delay_alu instid0(VALU_DEP_2) | instskip(NEXT) | instid1(VALU_DEP_2)
	v_min_i32_e32 v8, v4, v1
	v_add_min_i32_e64 v9, v12, 1, v4
	s_delay_alu instid0(VALU_DEP_1) | instskip(SKIP_1) | instid1(VALU_DEP_2)
	v_dual_sub_nc_u32 v1, v9, v12 :: v_dual_sub_nc_u32 v11, v12, v13
	v_lshlrev_b32_e32 v16, 2, v13
	v_sub_nc_u32_e32 v6, v8, v1
	v_cmp_ge_i32_e64 s0, v8, v1
	v_mul_u32_u24_e32 v1, 0x44, v10
	s_delay_alu instid0(VALU_DEP_2)
	v_dual_cndmask_b32 v14, 0, v6, s0 :: v_dual_min_i32 v11, v8, v11
	v_mad_u32_u24 v6, 0x44, v10, v0
	v_mad_u32_u24 v10, 0x44, v10, v16
	s_wait_loadcnt 0x0
	ds_store_b32 v6, v15
	; wave barrier
	v_cmpx_lt_i32_e64 v14, v11
	s_cbranch_execz .LBB9_6
; %bb.3:
	v_lshlrev_b32_e32 v15, 2, v12
	v_lshlrev_b32_e32 v16, 2, v8
	s_mov_b32 s2, 0
	s_delay_alu instid0(VALU_DEP_1)
	v_add3_u32 v15, v1, v15, v16
.LBB9_4:                                ; =>This Inner Loop Header: Depth=1
	v_sub_nc_u32_e32 v16, v11, v14
	s_delay_alu instid0(VALU_DEP_1) | instskip(NEXT) | instid1(VALU_DEP_1)
	v_lshrrev_b32_e32 v16, 1, v16
	v_add_nc_u32_e32 v16, v16, v14
	s_delay_alu instid0(VALU_DEP_1) | instskip(SKIP_1) | instid1(VALU_DEP_2)
	v_not_b32_e32 v17, v16
	v_lshl_add_u32 v18, v16, 2, v10
	v_lshl_add_u32 v17, v17, 2, v15
	ds_load_b32 v18, v18
	ds_load_b32 v17, v17
	s_wait_dscnt 0x0
	v_cmp_lt_f32_e64 s0, v17, v18
	s_delay_alu instid0(VALU_DEP_1) | instskip(NEXT) | instid1(VALU_DEP_1)
	v_dual_add_nc_u32 v19, 1, v16 :: v_dual_cndmask_b32 v11, v11, v16, s0
	v_cndmask_b32_e64 v14, v19, v14, s0
	s_delay_alu instid0(VALU_DEP_1) | instskip(SKIP_1) | instid1(SALU_CYCLE_1)
	v_cmp_ge_i32_e64 s0, v14, v11
	s_or_b32 s2, s0, s2
	s_and_not1_b32 exec_lo, exec_lo, s2
	s_cbranch_execnz .LBB9_4
; %bb.5:
	s_or_b32 exec_lo, exec_lo, s2
.LBB9_6:
	s_delay_alu instid0(SALU_CYCLE_1) | instskip(SKIP_3) | instid1(VALU_DEP_2)
	s_or_b32 exec_lo, exec_lo, s1
	v_dual_add_nc_u32 v8, v12, v8 :: v_dual_bitop2_b32 v11, 12, v7 bitop3:0x40
	s_mov_b32 s3, 0
	v_dual_add_nc_u32 v13, v14, v13 :: v_dual_bitop2_b32 v18, 3, v7 bitop3:0x40
	v_sub_nc_u32_e32 v15, v8, v14
	v_lshl_add_u32 v8, v14, 2, v10
	v_min_i32_e32 v11, v4, v11
	s_delay_alu instid0(VALU_DEP_4) | instskip(NEXT) | instid1(VALU_DEP_4)
	v_cmp_le_i32_e64 s0, v12, v13
	v_lshl_add_u32 v10, v15, 2, v1
	v_cmp_gt_i32_e64 s2, v9, v15
	s_delay_alu instid0(VALU_DEP_4) | instskip(SKIP_4) | instid1(VALU_DEP_2)
	v_lshl_add_u32 v9, v11, 2, v1
	ds_load_b32 v16, v8
	ds_load_b32 v17, v10
	v_add_min_i32_e64 v10, v11, 2, v4
	v_min_i32_e32 v14, v4, v18
	; wave barrier
	v_add_min_i32_e64 v8, v10, 2, v4
	s_delay_alu instid0(VALU_DEP_1) | instskip(NEXT) | instid1(VALU_DEP_1)
	v_dual_sub_nc_u32 v12, v10, v11 :: v_dual_sub_nc_u32 v18, v8, v10
	v_dual_sub_nc_u32 v13, v14, v18 :: v_dual_min_i32 v12, v14, v12
	s_wait_dscnt 0x0
	v_cmp_lt_f32_e64 s1, v17, v16
	s_or_b32 s1, s0, s1
	v_cmp_ge_i32_e64 s0, v14, v18
	s_delay_alu instid0(VALU_DEP_1)
	v_cndmask_b32_e64 v13, 0, v13, s0
	s_and_b32 s0, s2, s1
	s_mov_b32 s1, exec_lo
	v_cndmask_b32_e64 v15, v16, v17, s0
	ds_store_b32 v6, v15
	; wave barrier
	v_cmpx_lt_i32_e64 v13, v12
	s_cbranch_execz .LBB9_10
; %bb.7:
	v_lshlrev_b32_e32 v15, 2, v10
	v_lshlrev_b32_e32 v16, 2, v14
	s_delay_alu instid0(VALU_DEP_1)
	v_add3_u32 v15, v1, v15, v16
.LBB9_8:                                ; =>This Inner Loop Header: Depth=1
	v_sub_nc_u32_e32 v16, v12, v13
	s_delay_alu instid0(VALU_DEP_1) | instskip(NEXT) | instid1(VALU_DEP_1)
	v_lshrrev_b32_e32 v16, 1, v16
	v_add_nc_u32_e32 v16, v16, v13
	s_delay_alu instid0(VALU_DEP_1) | instskip(SKIP_1) | instid1(VALU_DEP_2)
	v_not_b32_e32 v17, v16
	v_lshl_add_u32 v18, v16, 2, v9
	v_lshl_add_u32 v17, v17, 2, v15
	ds_load_b32 v18, v18
	ds_load_b32 v17, v17
	s_wait_dscnt 0x0
	v_cmp_lt_f32_e64 s0, v17, v18
	s_delay_alu instid0(VALU_DEP_1) | instskip(NEXT) | instid1(VALU_DEP_1)
	v_dual_add_nc_u32 v19, 1, v16 :: v_dual_cndmask_b32 v12, v12, v16, s0
	v_cndmask_b32_e64 v13, v19, v13, s0
	s_delay_alu instid0(VALU_DEP_1) | instskip(SKIP_1) | instid1(SALU_CYCLE_1)
	v_cmp_ge_i32_e64 s0, v13, v12
	s_or_b32 s3, s0, s3
	s_and_not1_b32 exec_lo, exec_lo, s3
	s_cbranch_execnz .LBB9_8
; %bb.9:
	s_or_b32 exec_lo, exec_lo, s3
.LBB9_10:
	s_delay_alu instid0(SALU_CYCLE_1) | instskip(SKIP_3) | instid1(VALU_DEP_2)
	s_or_b32 exec_lo, exec_lo, s1
	v_dual_add_nc_u32 v12, v10, v14 :: v_dual_bitop2_b32 v15, 8, v7 bitop3:0x40
	v_lshl_add_u32 v9, v13, 2, v9
	s_mov_b32 s3, 0
	v_dual_sub_nc_u32 v14, v12, v13 :: v_dual_add_nc_u32 v13, v13, v11
	s_delay_alu instid0(VALU_DEP_1) | instskip(NEXT) | instid1(VALU_DEP_2)
	v_lshl_add_u32 v12, v14, 2, v1
	v_cmp_le_i32_e64 s0, v10, v13
	ds_load_b32 v16, v9
	ds_load_b32 v17, v12
	v_min_i32_e32 v12, v4, v15
	v_and_b32_e32 v15, 7, v7
	v_cmp_gt_i32_e64 s2, v8, v14
	; wave barrier
	s_delay_alu instid0(VALU_DEP_3) | instskip(NEXT) | instid1(VALU_DEP_3)
	v_add_min_i32_e64 v9, v12, 4, v4
	v_min_i32_e32 v11, v4, v15
	s_delay_alu instid0(VALU_DEP_2) | instskip(NEXT) | instid1(VALU_DEP_1)
	v_add_min_i32_e64 v7, v9, 4, v4
	v_dual_sub_nc_u32 v15, v7, v9 :: v_dual_sub_nc_u32 v10, v9, v12
	v_lshl_add_u32 v8, v12, 2, v1
	s_wait_dscnt 0x0
	v_cmp_lt_f32_e64 s1, v17, v16
	s_delay_alu instid0(VALU_DEP_3) | instskip(SKIP_2) | instid1(VALU_DEP_1)
	v_dual_sub_nc_u32 v13, v11, v15 :: v_dual_min_i32 v10, v11, v10
	s_or_b32 s1, s0, s1
	v_cmp_ge_i32_e64 s0, v11, v15
	v_cndmask_b32_e64 v13, 0, v13, s0
	s_and_b32 s0, s2, s1
	s_mov_b32 s1, exec_lo
	v_cndmask_b32_e64 v14, v16, v17, s0
	ds_store_b32 v6, v14
	; wave barrier
	v_cmpx_lt_i32_e64 v13, v10
	s_cbranch_execz .LBB9_14
; %bb.11:
	v_dual_lshlrev_b32 v14, 2, v9 :: v_dual_lshlrev_b32 v15, 2, v11
	s_delay_alu instid0(VALU_DEP_1)
	v_add3_u32 v14, v1, v14, v15
.LBB9_12:                               ; =>This Inner Loop Header: Depth=1
	v_sub_nc_u32_e32 v15, v10, v13
	s_delay_alu instid0(VALU_DEP_1) | instskip(NEXT) | instid1(VALU_DEP_1)
	v_lshrrev_b32_e32 v15, 1, v15
	v_add_nc_u32_e32 v15, v15, v13
	s_delay_alu instid0(VALU_DEP_1) | instskip(SKIP_1) | instid1(VALU_DEP_2)
	v_not_b32_e32 v16, v15
	v_lshl_add_u32 v17, v15, 2, v8
	v_lshl_add_u32 v16, v16, 2, v14
	ds_load_b32 v17, v17
	ds_load_b32 v16, v16
	s_wait_dscnt 0x0
	v_cmp_lt_f32_e64 s0, v16, v17
	s_delay_alu instid0(VALU_DEP_1) | instskip(NEXT) | instid1(VALU_DEP_1)
	v_dual_add_nc_u32 v18, 1, v15 :: v_dual_cndmask_b32 v10, v10, v15, s0
	v_cndmask_b32_e64 v13, v18, v13, s0
	s_delay_alu instid0(VALU_DEP_1) | instskip(SKIP_1) | instid1(SALU_CYCLE_1)
	v_cmp_ge_i32_e64 s0, v13, v10
	s_or_b32 s3, s0, s3
	s_and_not1_b32 exec_lo, exec_lo, s3
	s_cbranch_execnz .LBB9_12
; %bb.13:
	s_or_b32 exec_lo, exec_lo, s3
.LBB9_14:
	s_delay_alu instid0(SALU_CYCLE_1) | instskip(SKIP_3) | instid1(VALU_DEP_2)
	s_or_b32 exec_lo, exec_lo, s1
	v_add_nc_u32_e32 v10, v9, v11
	v_lshl_add_u32 v8, v13, 2, v8
	s_mov_b32 s3, 0
	v_sub_nc_u32_e32 v14, v10, v13
	s_delay_alu instid0(VALU_DEP_1) | instskip(SKIP_4) | instid1(VALU_DEP_2)
	v_lshl_add_u32 v10, v14, 2, v1
	ds_load_b32 v15, v8
	ds_load_b32 v16, v10
	v_min_i32_e32 v10, 0, v4
	v_cmp_gt_i32_e64 s2, v7, v14
	; wave barrier
	v_add_min_i32_e64 v11, v10, 8, v4
	v_lshl_add_u32 v7, v10, 2, v1
	s_delay_alu instid0(VALU_DEP_2) | instskip(SKIP_1) | instid1(VALU_DEP_2)
	v_add_min_i32_e64 v8, v11, 8, v4
	v_dual_add_nc_u32 v12, v13, v12 :: v_dual_min_i32 v4, v4, v5
	v_sub_nc_u32_e32 v5, v8, v11
	s_delay_alu instid0(VALU_DEP_2)
	v_cmp_le_i32_e64 s0, v9, v12
	v_sub_nc_u32_e32 v9, v11, v10
	s_wait_dscnt 0x0
	v_cmp_lt_f32_e64 s1, v16, v15
	v_sub_nc_u32_e32 v12, v4, v5
	s_or_b32 s1, s0, s1
	v_cmp_ge_i32_e64 s0, v4, v5
	s_delay_alu instid0(VALU_DEP_1)
	v_dual_cndmask_b32 v5, 0, v12, s0 :: v_dual_min_i32 v9, v4, v9
	s_and_b32 s0, s2, s1
	s_mov_b32 s1, exec_lo
	v_cndmask_b32_e64 v12, v15, v16, s0
	ds_store_b32 v6, v12
	; wave barrier
	v_cmpx_lt_i32_e64 v5, v9
	s_cbranch_execnz .LBB9_17
; %bb.15:
	s_or_b32 exec_lo, exec_lo, s1
	s_and_saveexec_b32 s0, vcc_lo
	s_cbranch_execnz .LBB9_20
.LBB9_16:
	s_endpgm
.LBB9_17:
	v_dual_lshlrev_b32 v6, 2, v11 :: v_dual_lshlrev_b32 v12, 2, v4
	s_delay_alu instid0(VALU_DEP_1)
	v_add3_u32 v6, v1, v6, v12
.LBB9_18:                               ; =>This Inner Loop Header: Depth=1
	v_sub_nc_u32_e32 v12, v9, v5
	s_delay_alu instid0(VALU_DEP_1) | instskip(NEXT) | instid1(VALU_DEP_1)
	v_lshrrev_b32_e32 v12, 1, v12
	v_add_nc_u32_e32 v12, v12, v5
	s_delay_alu instid0(VALU_DEP_1) | instskip(SKIP_1) | instid1(VALU_DEP_2)
	v_not_b32_e32 v13, v12
	v_lshl_add_u32 v14, v12, 2, v7
	v_lshl_add_u32 v13, v13, 2, v6
	ds_load_b32 v14, v14
	ds_load_b32 v13, v13
	s_wait_dscnt 0x0
	v_cmp_lt_f32_e64 s0, v13, v14
	s_delay_alu instid0(VALU_DEP_1) | instskip(NEXT) | instid1(VALU_DEP_1)
	v_dual_add_nc_u32 v15, 1, v12 :: v_dual_cndmask_b32 v9, v9, v12, s0
	v_cndmask_b32_e64 v5, v15, v5, s0
	s_delay_alu instid0(VALU_DEP_1) | instskip(SKIP_1) | instid1(SALU_CYCLE_1)
	v_cmp_ge_i32_e64 s0, v5, v9
	s_or_b32 s3, s0, s3
	s_and_not1_b32 exec_lo, exec_lo, s3
	s_cbranch_execnz .LBB9_18
; %bb.19:
	s_or_b32 exec_lo, exec_lo, s3
	s_delay_alu instid0(SALU_CYCLE_1)
	s_or_b32 exec_lo, exec_lo, s1
	s_and_saveexec_b32 s0, vcc_lo
	s_cbranch_execz .LBB9_16
.LBB9_20:
	v_add_nc_u32_e32 v4, v11, v4
	v_lshl_add_u32 v6, v5, 2, v7
	s_delay_alu instid0(VALU_DEP_2) | instskip(NEXT) | instid1(VALU_DEP_1)
	v_sub_nc_u32_e32 v4, v4, v5
	v_lshl_add_u32 v1, v4, 2, v1
	ds_load_b32 v7, v1
	ds_load_b32 v6, v6
	v_add_nc_u32_e32 v1, v5, v10
	s_delay_alu instid0(VALU_DEP_1) | instskip(SKIP_2) | instid1(VALU_DEP_2)
	v_cmp_le_i32_e32 vcc_lo, v11, v1
	v_mov_b32_e32 v1, 0
	v_cmp_gt_i32_e64 s1, v8, v4
	v_add_nc_u64_e32 v[0:1], v[2:3], v[0:1]
	s_wait_dscnt 0x0
	v_cmp_lt_f32_e64 s0, v7, v6
	s_or_b32 s0, vcc_lo, s0
	s_delay_alu instid0(SALU_CYCLE_1)
	s_and_b32 vcc_lo, s1, s0
	v_cndmask_b32_e32 v2, v6, v7, vcc_lo
	global_store_b32 v[0:1], v2, off
	s_endpgm
	.section	.rodata,"a",@progbits
	.p2align	6, 0x0
	.amdhsa_kernel _Z19sort_keys_segmentedILj64ELj16ELj1ELb0EfN10test_utils4lessEEvPT3_PKjT4_
		.amdhsa_group_segment_fixed_size 272
		.amdhsa_private_segment_fixed_size 0
		.amdhsa_kernarg_size 20
		.amdhsa_user_sgpr_count 2
		.amdhsa_user_sgpr_dispatch_ptr 0
		.amdhsa_user_sgpr_queue_ptr 0
		.amdhsa_user_sgpr_kernarg_segment_ptr 1
		.amdhsa_user_sgpr_dispatch_id 0
		.amdhsa_user_sgpr_kernarg_preload_length 0
		.amdhsa_user_sgpr_kernarg_preload_offset 0
		.amdhsa_user_sgpr_private_segment_size 0
		.amdhsa_wavefront_size32 1
		.amdhsa_uses_dynamic_stack 0
		.amdhsa_enable_private_segment 0
		.amdhsa_system_sgpr_workgroup_id_x 1
		.amdhsa_system_sgpr_workgroup_id_y 0
		.amdhsa_system_sgpr_workgroup_id_z 0
		.amdhsa_system_sgpr_workgroup_info 0
		.amdhsa_system_vgpr_workitem_id 0
		.amdhsa_next_free_vgpr 20
		.amdhsa_next_free_sgpr 7
		.amdhsa_named_barrier_count 0
		.amdhsa_reserve_vcc 1
		.amdhsa_float_round_mode_32 0
		.amdhsa_float_round_mode_16_64 0
		.amdhsa_float_denorm_mode_32 3
		.amdhsa_float_denorm_mode_16_64 3
		.amdhsa_fp16_overflow 0
		.amdhsa_memory_ordered 1
		.amdhsa_forward_progress 1
		.amdhsa_inst_pref_size 14
		.amdhsa_round_robin_scheduling 0
		.amdhsa_exception_fp_ieee_invalid_op 0
		.amdhsa_exception_fp_denorm_src 0
		.amdhsa_exception_fp_ieee_div_zero 0
		.amdhsa_exception_fp_ieee_overflow 0
		.amdhsa_exception_fp_ieee_underflow 0
		.amdhsa_exception_fp_ieee_inexact 0
		.amdhsa_exception_int_div_zero 0
	.end_amdhsa_kernel
	.section	.text._Z19sort_keys_segmentedILj64ELj16ELj1ELb0EfN10test_utils4lessEEvPT3_PKjT4_,"axG",@progbits,_Z19sort_keys_segmentedILj64ELj16ELj1ELb0EfN10test_utils4lessEEvPT3_PKjT4_,comdat
.Lfunc_end9:
	.size	_Z19sort_keys_segmentedILj64ELj16ELj1ELb0EfN10test_utils4lessEEvPT3_PKjT4_, .Lfunc_end9-_Z19sort_keys_segmentedILj64ELj16ELj1ELb0EfN10test_utils4lessEEvPT3_PKjT4_
                                        ; -- End function
	.set _Z19sort_keys_segmentedILj64ELj16ELj1ELb0EfN10test_utils4lessEEvPT3_PKjT4_.num_vgpr, 20
	.set _Z19sort_keys_segmentedILj64ELj16ELj1ELb0EfN10test_utils4lessEEvPT3_PKjT4_.num_agpr, 0
	.set _Z19sort_keys_segmentedILj64ELj16ELj1ELb0EfN10test_utils4lessEEvPT3_PKjT4_.numbered_sgpr, 7
	.set _Z19sort_keys_segmentedILj64ELj16ELj1ELb0EfN10test_utils4lessEEvPT3_PKjT4_.num_named_barrier, 0
	.set _Z19sort_keys_segmentedILj64ELj16ELj1ELb0EfN10test_utils4lessEEvPT3_PKjT4_.private_seg_size, 0
	.set _Z19sort_keys_segmentedILj64ELj16ELj1ELb0EfN10test_utils4lessEEvPT3_PKjT4_.uses_vcc, 1
	.set _Z19sort_keys_segmentedILj64ELj16ELj1ELb0EfN10test_utils4lessEEvPT3_PKjT4_.uses_flat_scratch, 0
	.set _Z19sort_keys_segmentedILj64ELj16ELj1ELb0EfN10test_utils4lessEEvPT3_PKjT4_.has_dyn_sized_stack, 0
	.set _Z19sort_keys_segmentedILj64ELj16ELj1ELb0EfN10test_utils4lessEEvPT3_PKjT4_.has_recursion, 0
	.set _Z19sort_keys_segmentedILj64ELj16ELj1ELb0EfN10test_utils4lessEEvPT3_PKjT4_.has_indirect_call, 0
	.section	.AMDGPU.csdata,"",@progbits
; Kernel info:
; codeLenInByte = 1688
; TotalNumSgprs: 9
; NumVgprs: 20
; ScratchSize: 0
; MemoryBound: 0
; FloatMode: 240
; IeeeMode: 1
; LDSByteSize: 272 bytes/workgroup (compile time only)
; SGPRBlocks: 0
; VGPRBlocks: 1
; NumSGPRsForWavesPerEU: 9
; NumVGPRsForWavesPerEU: 20
; NamedBarCnt: 0
; Occupancy: 16
; WaveLimiterHint : 0
; COMPUTE_PGM_RSRC2:SCRATCH_EN: 0
; COMPUTE_PGM_RSRC2:USER_SGPR: 2
; COMPUTE_PGM_RSRC2:TRAP_HANDLER: 0
; COMPUTE_PGM_RSRC2:TGID_X_EN: 1
; COMPUTE_PGM_RSRC2:TGID_Y_EN: 0
; COMPUTE_PGM_RSRC2:TGID_Z_EN: 0
; COMPUTE_PGM_RSRC2:TIDIG_COMP_CNT: 0
	.section	.text._Z19sort_keys_segmentedILj256ELj2ELj1ELb0EjN10test_utils4lessEEvPT3_PKjT4_,"axG",@progbits,_Z19sort_keys_segmentedILj256ELj2ELj1ELb0EjN10test_utils4lessEEvPT3_PKjT4_,comdat
	.protected	_Z19sort_keys_segmentedILj256ELj2ELj1ELb0EjN10test_utils4lessEEvPT3_PKjT4_ ; -- Begin function _Z19sort_keys_segmentedILj256ELj2ELj1ELb0EjN10test_utils4lessEEvPT3_PKjT4_
	.globl	_Z19sort_keys_segmentedILj256ELj2ELj1ELb0EjN10test_utils4lessEEvPT3_PKjT4_
	.p2align	8
	.type	_Z19sort_keys_segmentedILj256ELj2ELj1ELb0EjN10test_utils4lessEEvPT3_PKjT4_,@function
_Z19sort_keys_segmentedILj256ELj2ELj1ELb0EjN10test_utils4lessEEvPT3_PKjT4_: ; @_Z19sort_keys_segmentedILj256ELj2ELj1ELb0EjN10test_utils4lessEEvPT3_PKjT4_
; %bb.0:
	s_load_b128 s[0:3], s[0:1], 0x0
	s_bfe_u32 s4, ttmp6, 0x4000c
	s_and_b32 s5, ttmp6, 15
	s_add_co_i32 s4, s4, 1
	s_getreg_b32 s6, hwreg(HW_REG_IB_STS2, 6, 4)
	s_mul_i32 s4, ttmp9, s4
	v_dual_lshrrev_b32 v9, 1, v0 :: v_dual_mov_b32 v1, 0
	s_add_co_i32 s5, s5, s4
	s_cmp_eq_u32 s6, 0
	v_mbcnt_lo_u32_b32 v2, -1, 0
	s_cselect_b32 s4, ttmp9, s5
                                        ; implicit-def: $vgpr11
	s_delay_alu instid0(SALU_CYCLE_1) | instskip(NEXT) | instid1(VALU_DEP_2)
	v_lshl_or_b32 v0, s4, 7, v9
	v_and_b32_e32 v7, 1, v2
	s_wait_kmcnt 0x0
	global_load_b32 v6, v0, s[2:3] scale_offset
	s_wait_xcnt 0x0
	v_lshlrev_b32_e32 v0, 1, v0
	s_delay_alu instid0(VALU_DEP_1)
	v_lshl_add_u64 v[2:3], v[0:1], 2, s[0:1]
	v_lshlrev_b32_e32 v0, 2, v7
	s_wait_loadcnt 0x0
	v_cmp_lt_u32_e32 vcc_lo, v7, v6
	s_and_saveexec_b32 s0, vcc_lo
	s_cbranch_execz .LBB10_2
; %bb.1:
	v_add_nc_u64_e32 v[4:5], v[2:3], v[0:1]
	global_load_b32 v11, v[4:5], off
.LBB10_2:
	s_wait_xcnt 0x0
	s_or_b32 exec_lo, exec_lo, s0
	v_min_i32_e32 v1, 0, v6
	v_mad_u32_u24 v13, v9, 12, v0
	s_mov_b32 s1, exec_lo
	; wave barrier
	s_delay_alu instid0(VALU_DEP_2) | instskip(SKIP_4) | instid1(VALU_DEP_1)
	v_add_min_i32_e64 v5, v1, 1, v6
	v_min_i32_e32 v7, v6, v7
	s_wait_loadcnt 0x0
	ds_store_b32 v13, v11
	; wave barrier
	v_add_min_i32_e64 v4, v5, 1, v6
	v_sub_nc_u32_e32 v6, v4, v5
	v_dual_sub_nc_u32 v10, v5, v1 :: v_dual_lshlrev_b32 v12, 2, v1
	s_delay_alu instid0(VALU_DEP_2) | instskip(SKIP_1) | instid1(VALU_DEP_1)
	v_sub_nc_u32_e32 v8, v7, v6
	v_cmp_ge_i32_e64 s0, v7, v6
	v_dual_cndmask_b32 v6, 0, v8, s0 :: v_dual_min_i32 v10, v7, v10
	v_mul_u32_u24_e32 v8, 12, v9
	v_mad_u32_u24 v9, v9, 12, v12
	s_delay_alu instid0(VALU_DEP_3)
	v_cmpx_lt_i32_e64 v6, v10
	s_cbranch_execnz .LBB10_5
; %bb.3:
	s_or_b32 exec_lo, exec_lo, s1
	s_and_saveexec_b32 s0, vcc_lo
	s_cbranch_execnz .LBB10_8
.LBB10_4:
	s_endpgm
.LBB10_5:
	v_dual_lshlrev_b32 v11, 2, v5 :: v_dual_lshlrev_b32 v12, 2, v7
	s_mov_b32 s2, 0
	s_delay_alu instid0(VALU_DEP_1)
	v_add3_u32 v11, v8, v11, v12
.LBB10_6:                               ; =>This Inner Loop Header: Depth=1
	v_sub_nc_u32_e32 v12, v10, v6
	s_delay_alu instid0(VALU_DEP_1) | instskip(NEXT) | instid1(VALU_DEP_1)
	v_lshrrev_b32_e32 v12, 1, v12
	v_add_nc_u32_e32 v12, v12, v6
	s_delay_alu instid0(VALU_DEP_1) | instskip(SKIP_1) | instid1(VALU_DEP_2)
	v_not_b32_e32 v13, v12
	v_lshl_add_u32 v14, v12, 2, v9
	v_lshl_add_u32 v13, v13, 2, v11
	ds_load_b32 v14, v14
	ds_load_b32 v13, v13
	s_wait_dscnt 0x0
	v_cmp_lt_u32_e64 s0, v13, v14
	s_delay_alu instid0(VALU_DEP_1) | instskip(NEXT) | instid1(VALU_DEP_1)
	v_dual_add_nc_u32 v15, 1, v12 :: v_dual_cndmask_b32 v10, v10, v12, s0
	v_cndmask_b32_e64 v6, v15, v6, s0
	s_delay_alu instid0(VALU_DEP_1) | instskip(SKIP_1) | instid1(SALU_CYCLE_1)
	v_cmp_ge_i32_e64 s0, v6, v10
	s_or_b32 s2, s0, s2
	s_and_not1_b32 exec_lo, exec_lo, s2
	s_cbranch_execnz .LBB10_6
; %bb.7:
	s_or_b32 exec_lo, exec_lo, s2
	s_delay_alu instid0(SALU_CYCLE_1)
	s_or_b32 exec_lo, exec_lo, s1
	s_and_saveexec_b32 s0, vcc_lo
	s_cbranch_execz .LBB10_4
.LBB10_8:
	v_dual_add_nc_u32 v7, v5, v7 :: v_dual_add_nc_u32 v1, v6, v1
	v_lshl_add_u32 v9, v6, 2, v9
	s_delay_alu instid0(VALU_DEP_2) | instskip(NEXT) | instid1(VALU_DEP_3)
	v_sub_nc_u32_e32 v7, v7, v6
	v_cmp_le_i32_e32 vcc_lo, v5, v1
	v_mov_b32_e32 v1, 0
	s_delay_alu instid0(VALU_DEP_3) | instskip(SKIP_1) | instid1(VALU_DEP_3)
	v_lshl_add_u32 v8, v7, 2, v8
	v_cmp_gt_i32_e64 s1, v4, v7
	v_add_nc_u64_e32 v[0:1], v[2:3], v[0:1]
	ds_load_b32 v8, v8
	ds_load_b32 v9, v9
	s_wait_dscnt 0x0
	v_cmp_lt_u32_e64 s0, v8, v9
	s_or_b32 s0, vcc_lo, s0
	s_delay_alu instid0(SALU_CYCLE_1)
	s_and_b32 vcc_lo, s1, s0
	v_cndmask_b32_e32 v2, v9, v8, vcc_lo
	global_store_b32 v[0:1], v2, off
	s_endpgm
	.section	.rodata,"a",@progbits
	.p2align	6, 0x0
	.amdhsa_kernel _Z19sort_keys_segmentedILj256ELj2ELj1ELb0EjN10test_utils4lessEEvPT3_PKjT4_
		.amdhsa_group_segment_fixed_size 1536
		.amdhsa_private_segment_fixed_size 0
		.amdhsa_kernarg_size 20
		.amdhsa_user_sgpr_count 2
		.amdhsa_user_sgpr_dispatch_ptr 0
		.amdhsa_user_sgpr_queue_ptr 0
		.amdhsa_user_sgpr_kernarg_segment_ptr 1
		.amdhsa_user_sgpr_dispatch_id 0
		.amdhsa_user_sgpr_kernarg_preload_length 0
		.amdhsa_user_sgpr_kernarg_preload_offset 0
		.amdhsa_user_sgpr_private_segment_size 0
		.amdhsa_wavefront_size32 1
		.amdhsa_uses_dynamic_stack 0
		.amdhsa_enable_private_segment 0
		.amdhsa_system_sgpr_workgroup_id_x 1
		.amdhsa_system_sgpr_workgroup_id_y 0
		.amdhsa_system_sgpr_workgroup_id_z 0
		.amdhsa_system_sgpr_workgroup_info 0
		.amdhsa_system_vgpr_workitem_id 0
		.amdhsa_next_free_vgpr 16
		.amdhsa_next_free_sgpr 7
		.amdhsa_named_barrier_count 0
		.amdhsa_reserve_vcc 1
		.amdhsa_float_round_mode_32 0
		.amdhsa_float_round_mode_16_64 0
		.amdhsa_float_denorm_mode_32 3
		.amdhsa_float_denorm_mode_16_64 3
		.amdhsa_fp16_overflow 0
		.amdhsa_memory_ordered 1
		.amdhsa_forward_progress 1
		.amdhsa_inst_pref_size 5
		.amdhsa_round_robin_scheduling 0
		.amdhsa_exception_fp_ieee_invalid_op 0
		.amdhsa_exception_fp_denorm_src 0
		.amdhsa_exception_fp_ieee_div_zero 0
		.amdhsa_exception_fp_ieee_overflow 0
		.amdhsa_exception_fp_ieee_underflow 0
		.amdhsa_exception_fp_ieee_inexact 0
		.amdhsa_exception_int_div_zero 0
	.end_amdhsa_kernel
	.section	.text._Z19sort_keys_segmentedILj256ELj2ELj1ELb0EjN10test_utils4lessEEvPT3_PKjT4_,"axG",@progbits,_Z19sort_keys_segmentedILj256ELj2ELj1ELb0EjN10test_utils4lessEEvPT3_PKjT4_,comdat
.Lfunc_end10:
	.size	_Z19sort_keys_segmentedILj256ELj2ELj1ELb0EjN10test_utils4lessEEvPT3_PKjT4_, .Lfunc_end10-_Z19sort_keys_segmentedILj256ELj2ELj1ELb0EjN10test_utils4lessEEvPT3_PKjT4_
                                        ; -- End function
	.set _Z19sort_keys_segmentedILj256ELj2ELj1ELb0EjN10test_utils4lessEEvPT3_PKjT4_.num_vgpr, 16
	.set _Z19sort_keys_segmentedILj256ELj2ELj1ELb0EjN10test_utils4lessEEvPT3_PKjT4_.num_agpr, 0
	.set _Z19sort_keys_segmentedILj256ELj2ELj1ELb0EjN10test_utils4lessEEvPT3_PKjT4_.numbered_sgpr, 7
	.set _Z19sort_keys_segmentedILj256ELj2ELj1ELb0EjN10test_utils4lessEEvPT3_PKjT4_.num_named_barrier, 0
	.set _Z19sort_keys_segmentedILj256ELj2ELj1ELb0EjN10test_utils4lessEEvPT3_PKjT4_.private_seg_size, 0
	.set _Z19sort_keys_segmentedILj256ELj2ELj1ELb0EjN10test_utils4lessEEvPT3_PKjT4_.uses_vcc, 1
	.set _Z19sort_keys_segmentedILj256ELj2ELj1ELb0EjN10test_utils4lessEEvPT3_PKjT4_.uses_flat_scratch, 0
	.set _Z19sort_keys_segmentedILj256ELj2ELj1ELb0EjN10test_utils4lessEEvPT3_PKjT4_.has_dyn_sized_stack, 0
	.set _Z19sort_keys_segmentedILj256ELj2ELj1ELb0EjN10test_utils4lessEEvPT3_PKjT4_.has_recursion, 0
	.set _Z19sort_keys_segmentedILj256ELj2ELj1ELb0EjN10test_utils4lessEEvPT3_PKjT4_.has_indirect_call, 0
	.section	.AMDGPU.csdata,"",@progbits
; Kernel info:
; codeLenInByte = 584
; TotalNumSgprs: 9
; NumVgprs: 16
; ScratchSize: 0
; MemoryBound: 0
; FloatMode: 240
; IeeeMode: 1
; LDSByteSize: 1536 bytes/workgroup (compile time only)
; SGPRBlocks: 0
; VGPRBlocks: 0
; NumSGPRsForWavesPerEU: 9
; NumVGPRsForWavesPerEU: 16
; NamedBarCnt: 0
; Occupancy: 16
; WaveLimiterHint : 0
; COMPUTE_PGM_RSRC2:SCRATCH_EN: 0
; COMPUTE_PGM_RSRC2:USER_SGPR: 2
; COMPUTE_PGM_RSRC2:TRAP_HANDLER: 0
; COMPUTE_PGM_RSRC2:TGID_X_EN: 1
; COMPUTE_PGM_RSRC2:TGID_Y_EN: 0
; COMPUTE_PGM_RSRC2:TGID_Z_EN: 0
; COMPUTE_PGM_RSRC2:TIDIG_COMP_CNT: 0
	.section	.text._Z26sort_keys_values_segmentedILj256ELj32ELj7ELb0EiN10test_utils16custom_test_typeIsEENS0_7greaterEEvPT3_PT4_PKjT5_,"axG",@progbits,_Z26sort_keys_values_segmentedILj256ELj32ELj7ELb0EiN10test_utils16custom_test_typeIsEENS0_7greaterEEvPT3_PT4_PKjT5_,comdat
	.protected	_Z26sort_keys_values_segmentedILj256ELj32ELj7ELb0EiN10test_utils16custom_test_typeIsEENS0_7greaterEEvPT3_PT4_PKjT5_ ; -- Begin function _Z26sort_keys_values_segmentedILj256ELj32ELj7ELb0EiN10test_utils16custom_test_typeIsEENS0_7greaterEEvPT3_PT4_PKjT5_
	.globl	_Z26sort_keys_values_segmentedILj256ELj32ELj7ELb0EiN10test_utils16custom_test_typeIsEENS0_7greaterEEvPT3_PT4_PKjT5_
	.p2align	8
	.type	_Z26sort_keys_values_segmentedILj256ELj32ELj7ELb0EiN10test_utils16custom_test_typeIsEENS0_7greaterEEvPT3_PT4_PKjT5_,@function
_Z26sort_keys_values_segmentedILj256ELj32ELj7ELb0EiN10test_utils16custom_test_typeIsEENS0_7greaterEEvPT3_PT4_PKjT5_: ; @_Z26sort_keys_values_segmentedILj256ELj32ELj7ELb0EiN10test_utils16custom_test_typeIsEENS0_7greaterEEvPT3_PT4_PKjT5_
; %bb.0:
	s_load_b64 s[2:3], s[0:1], 0x10
	s_bfe_u32 s4, ttmp6, 0x4000c
	s_and_b32 s5, ttmp6, 15
	s_add_co_i32 s4, s4, 1
	s_getreg_b32 s6, hwreg(HW_REG_IB_STS2, 6, 4)
	s_mul_i32 s4, ttmp9, s4
	v_dual_mov_b32 v11, 0 :: v_dual_lshrrev_b32 v22, 5, v0
	s_add_co_i32 s5, s5, s4
	s_cmp_eq_u32 s6, 0
	v_mbcnt_lo_u32_b32 v15, -1, 0
	s_cselect_b32 s4, ttmp9, s5
	v_mov_b32_e32 v13, v11
	v_lshl_or_b32 v0, s4, 3, v22
	s_load_b128 s[4:7], s[0:1], 0x0
	v_mul_u32_u24_e32 v14, 7, v15
	v_dual_mov_b32 v1, v11 :: v_dual_mov_b32 v2, v11
	v_mov_b32_e32 v3, v11
	v_mul_lo_u32 v10, 0xe0, v0
	s_wait_kmcnt 0x0
	global_load_b32 v7, v0, s[2:3] scale_offset
	s_wait_xcnt 0x0
	v_dual_lshlrev_b32 v12, 2, v14 :: v_dual_mov_b32 v0, v11
	v_dual_mov_b32 v4, v11 :: v_dual_mov_b32 v5, v11
	v_mov_b32_e32 v6, v11
	v_lshl_add_u64 v[8:9], v[10:11], 2, s[4:5]
	s_delay_alu instid0(VALU_DEP_1)
	v_add_nc_u64_e32 v[8:9], v[8:9], v[12:13]
	s_wait_loadcnt 0x0
	v_cmp_lt_u32_e32 vcc_lo, v14, v7
	s_and_saveexec_b32 s0, vcc_lo
	s_cbranch_execz .LBB11_2
; %bb.1:
	global_load_b32 v0, v[8:9], off
	v_dual_mov_b32 v1, v11 :: v_dual_mov_b32 v2, v11
	v_dual_mov_b32 v3, v11 :: v_dual_mov_b32 v4, v11
	;; [unrolled: 1-line block ×3, first 2 shown]
.LBB11_2:
	s_wait_xcnt 0x0
	s_or_b32 exec_lo, exec_lo, s0
	v_add_nc_u32_e32 v23, 1, v14
	s_delay_alu instid0(VALU_DEP_1)
	v_cmp_lt_u32_e64 s0, v23, v7
	s_and_saveexec_b32 s1, s0
	s_cbranch_execz .LBB11_4
; %bb.3:
	global_load_b32 v1, v[8:9], off offset:4
.LBB11_4:
	s_wait_xcnt 0x0
	s_or_b32 exec_lo, exec_lo, s1
	v_add_nc_u32_e32 v24, 2, v14
	s_delay_alu instid0(VALU_DEP_1)
	v_cmp_lt_u32_e64 s1, v24, v7
	s_and_saveexec_b32 s2, s1
	s_cbranch_execz .LBB11_6
; %bb.5:
	global_load_b32 v2, v[8:9], off offset:8
.LBB11_6:
	;; [unrolled: 10-line block ×6, first 2 shown]
	s_wait_xcnt 0x0
	s_or_b32 exec_lo, exec_lo, s8
	v_lshl_add_u64 v[10:11], v[10:11], 2, s[6:7]
	v_dual_mov_b32 v13, 0 :: v_dual_mov_b32 v17, 0
	s_delay_alu instid0(VALU_DEP_1)
	v_add_nc_u64_e32 v[10:11], v[10:11], v[12:13]
	s_and_saveexec_b32 s6, vcc_lo
	s_cbranch_execz .LBB11_16
; %bb.15:
	global_load_b32 v17, v[10:11], off
.LBB11_16:
	s_wait_xcnt 0x0
	s_or_b32 exec_lo, exec_lo, s6
	s_and_saveexec_b32 s6, s0
	s_cbranch_execz .LBB11_18
; %bb.17:
	global_load_b32 v13, v[10:11], off offset:4
.LBB11_18:
	s_wait_xcnt 0x0
	s_or_b32 exec_lo, exec_lo, s6
	v_dual_mov_b32 v19, 0 :: v_dual_mov_b32 v20, 0
	s_and_saveexec_b32 s6, s1
	s_cbranch_execz .LBB11_20
; %bb.19:
	global_load_b32 v20, v[10:11], off offset:8
.LBB11_20:
	s_wait_xcnt 0x0
	s_or_b32 exec_lo, exec_lo, s6
	s_and_saveexec_b32 s6, s2
	s_cbranch_execz .LBB11_22
; %bb.21:
	global_load_b32 v19, v[10:11], off offset:12
.LBB11_22:
	s_wait_xcnt 0x0
	s_or_b32 exec_lo, exec_lo, s6
	v_dual_mov_b32 v16, 0 :: v_dual_mov_b32 v18, 0
	s_and_saveexec_b32 s6, s3
	s_cbranch_execnz .LBB11_29
; %bb.23:
	s_or_b32 exec_lo, exec_lo, s6
	s_and_saveexec_b32 s6, s4
	s_cbranch_execnz .LBB11_30
.LBB11_24:
	s_or_b32 exec_lo, exec_lo, s6
	v_mov_b32_e32 v21, 0
	s_and_saveexec_b32 s6, s5
	s_cbranch_execz .LBB11_26
.LBB11_25:
	global_load_b32 v21, v[10:11], off offset:24
.LBB11_26:
	s_wait_xcnt 0x0
	s_or_b32 exec_lo, exec_lo, s6
	v_cmp_lt_i32_e64 s6, v26, v7
	v_cmp_lt_i32_e64 s7, v28, v7
	;; [unrolled: 1-line block ×5, first 2 shown]
	s_or_b32 s6, s7, s6
	s_wait_loadcnt 0x0
	v_cndmask_b32_e64 v5, 0x80000000, v5, s7
	v_cndmask_b32_e64 v4, 0x80000000, v4, s6
	s_or_b32 s6, s6, s9
	s_brev_b32 s9, 1
	v_cndmask_b32_e64 v3, 0x80000000, v3, s6
	s_or_b32 s6, s6, s10
	s_mov_b32 s7, 0
	v_cndmask_b32_e64 v2, 0x80000000, v2, s6
	s_or_b32 s6, s6, s8
	s_mov_b32 s8, exec_lo
	v_cndmask_b32_e64 v1, 0x80000000, v1, s6
	v_cmpx_ge_i32_e64 v27, v7
	s_xor_b32 s8, exec_lo, s8
	s_cbranch_execnz .LBB11_31
; %bb.27:
	s_and_not1_saveexec_b32 s6, s8
	s_cbranch_execnz .LBB11_32
.LBB11_28:
	s_or_b32 exec_lo, exec_lo, s6
	v_bfrev_b32_e32 v23, 1
	s_and_saveexec_b32 s10, s7
	s_cbranch_execnz .LBB11_33
	s_branch .LBB11_36
.LBB11_29:
	global_load_b32 v18, v[10:11], off offset:16
	s_wait_xcnt 0x0
	s_or_b32 exec_lo, exec_lo, s6
	s_and_saveexec_b32 s6, s4
	s_cbranch_execz .LBB11_24
.LBB11_30:
	global_load_b32 v16, v[10:11], off offset:20
	s_wait_xcnt 0x0
	s_or_b32 exec_lo, exec_lo, s6
	v_mov_b32_e32 v21, 0
	s_and_saveexec_b32 s6, s5
	s_cbranch_execnz .LBB11_25
	s_branch .LBB11_26
.LBB11_31:
	v_cmp_lt_i32_e64 s6, v14, v7
	v_mov_b32_e32 v6, s9
	s_and_b32 s7, s6, exec_lo
	s_and_not1_saveexec_b32 s6, s8
	s_cbranch_execz .LBB11_28
.LBB11_32:
	s_or_b32 s7, s7, exec_lo
	s_or_b32 exec_lo, exec_lo, s6
	v_bfrev_b32_e32 v23, 1
	s_and_saveexec_b32 s10, s7
	s_cbranch_execz .LBB11_36
.LBB11_33:
	v_cmp_gt_i32_e64 s6, v1, v0
	v_cmp_gt_i32_e64 s7, v3, v2
	s_mov_b32 s11, exec_lo
	v_cndmask_b32_e64 v23, v13, v17, s6
	v_dual_cndmask_b32 v13, v17, v13, s6 :: v_dual_cndmask_b32 v24, v2, v3, s7
	v_dual_cndmask_b32 v17, v0, v1, s6 :: v_dual_cndmask_b32 v0, v1, v0, s6
	v_cmp_gt_i32_e64 s6, v5, v4
	v_dual_cndmask_b32 v1, v19, v20, s7 :: v_dual_cndmask_b32 v19, v20, v19, s7
	v_cndmask_b32_e64 v2, v3, v2, s7
	s_delay_alu instid0(VALU_DEP_4) | instskip(NEXT) | instid1(VALU_DEP_4)
	v_cmp_gt_i32_e64 s7, v24, v0
	v_dual_cndmask_b32 v20, v4, v5, s6 :: v_dual_cndmask_b32 v4, v5, v4, s6
	v_dual_cndmask_b32 v3, v16, v18, s6 :: v_dual_cndmask_b32 v16, v18, v16, s6
	s_delay_alu instid0(VALU_DEP_3) | instskip(NEXT) | instid1(VALU_DEP_3)
	v_cndmask_b32_e64 v5, v19, v23, s7
	v_cmp_gt_i32_e64 s6, v20, v2
	v_dual_cndmask_b32 v18, v23, v19, s7 :: v_dual_cndmask_b32 v19, v24, v0, s7
	v_cndmask_b32_e64 v0, v0, v24, s7
	v_cmp_gt_i32_e64 s7, v6, v4
	s_delay_alu instid0(VALU_DEP_4) | instskip(SKIP_1) | instid1(VALU_DEP_3)
	v_dual_cndmask_b32 v23, v16, v1, s6 :: v_dual_cndmask_b32 v1, v1, v16, s6
	v_dual_cndmask_b32 v16, v20, v2, s6 :: v_dual_cndmask_b32 v2, v2, v20, s6
	;; [unrolled: 1-line block ×3, first 2 shown]
	v_cmp_gt_i32_e64 s6, v0, v17
	v_dual_cndmask_b32 v21, v6, v4, s7 :: v_dual_cndmask_b32 v4, v4, v6, s7
	s_delay_alu instid0(VALU_DEP_4) | instskip(NEXT) | instid1(VALU_DEP_3)
	v_cmp_gt_i32_e64 s7, v2, v19
	v_dual_cndmask_b32 v6, v18, v13, s6 :: v_dual_cndmask_b32 v13, v13, v18, s6
	v_dual_cndmask_b32 v18, v17, v0, s6 :: v_dual_cndmask_b32 v0, v0, v17, s6
	s_delay_alu instid0(VALU_DEP_3) | instskip(SKIP_2) | instid1(VALU_DEP_3)
	v_dual_cndmask_b32 v17, v1, v5, s7 :: v_dual_cndmask_b32 v24, v19, v2, s7
	v_cmp_gt_i32_e64 s6, v4, v16
	v_dual_cndmask_b32 v1, v5, v1, s7 :: v_dual_cndmask_b32 v2, v2, v19, s7
	v_cmp_gt_i32_e64 s7, v24, v0
	s_delay_alu instid0(VALU_DEP_3) | instskip(SKIP_1) | instid1(VALU_DEP_3)
	v_dual_cndmask_b32 v5, v3, v23, s6 :: v_dual_cndmask_b32 v19, v16, v4, s6
	v_dual_cndmask_b32 v3, v23, v3, s6 :: v_dual_cndmask_b32 v4, v4, v16, s6
	;; [unrolled: 1-line block ×3, first 2 shown]
	s_delay_alu instid0(VALU_DEP_3) | instskip(SKIP_3) | instid1(VALU_DEP_4)
	v_cmp_gt_i32_e64 s6, v19, v2
	v_cndmask_b32_e64 v23, v24, v0, s7
	v_cndmask_b32_e64 v0, v0, v24, s7
	v_cmp_gt_i32_e64 s7, v21, v4
	v_dual_cndmask_b32 v24, v3, v17, s6 :: v_dual_cndmask_b32 v3, v17, v3, s6
	v_dual_cndmask_b32 v25, v19, v2, s6 :: v_dual_cndmask_b32 v2, v2, v19, s6
	s_delay_alu instid0(VALU_DEP_4) | instskip(NEXT) | instid1(VALU_DEP_4)
	v_cmp_gt_i32_e64 s6, v0, v18
	v_dual_cndmask_b32 v26, v21, v4, s7 :: v_dual_cndmask_b32 v4, v4, v21, s7
	v_dual_cndmask_b32 v6, v20, v5, s7 :: v_dual_cndmask_b32 v5, v5, v20, s7
	s_delay_alu instid0(VALU_DEP_3) | instskip(SKIP_3) | instid1(VALU_DEP_2)
	v_dual_cndmask_b32 v19, v1, v13, s6 :: v_dual_cndmask_b32 v27, v18, v0, s6
	v_dual_cndmask_b32 v17, v13, v1, s6 :: v_dual_cndmask_b32 v0, v0, v18, s6
	v_cmp_gt_i32_e64 s7, v2, v23
	v_cmp_gt_i32_e64 s6, v4, v25
	v_dual_cndmask_b32 v1, v3, v16, s7 :: v_dual_cndmask_b32 v3, v16, v3, s7
	v_dual_cndmask_b32 v18, v23, v2, s7 :: v_dual_cndmask_b32 v2, v2, v23, s7
	s_delay_alu instid0(VALU_DEP_3) | instskip(SKIP_1) | instid1(VALU_DEP_3)
	v_dual_cndmask_b32 v16, v25, v4, s6 :: v_dual_cndmask_b32 v25, v4, v25, s6
	v_dual_cndmask_b32 v13, v5, v24, s6 :: v_dual_cndmask_b32 v5, v24, v5, s6
	v_cmp_gt_i32_e64 s7, v18, v0
	s_delay_alu instid0(VALU_DEP_3) | instskip(NEXT) | instid1(VALU_DEP_4)
	v_cmp_gt_i32_e64 s8, v16, v2
	v_cmp_gt_i32_e64 s6, v26, v25
	s_delay_alu instid0(VALU_DEP_3) | instskip(SKIP_1) | instid1(VALU_DEP_4)
	v_dual_cndmask_b32 v20, v3, v19, s7 :: v_dual_cndmask_b32 v28, v18, v0, s7
	v_dual_cndmask_b32 v19, v19, v3, s7 :: v_dual_cndmask_b32 v0, v0, v18, s7
	;; [unrolled: 1-line block ×4, first 2 shown]
	s_delay_alu instid0(VALU_DEP_3) | instskip(SKIP_1) | instid1(VALU_DEP_4)
	v_cmp_gt_i32_e64 s7, v0, v27
	v_dual_cndmask_b32 v16, v13, v6, s6 :: v_dual_cndmask_b32 v23, v26, v25, s6
	v_cmp_gt_i32_e64 s8, v18, v28
	s_delay_alu instid0(VALU_DEP_3) | instskip(NEXT) | instid1(VALU_DEP_2)
	v_dual_cndmask_b32 v5, v25, v26, s6 :: v_dual_cndmask_b32 v1, v0, v27, s7
	v_dual_cndmask_b32 v0, v27, v0, s7 :: v_dual_cndmask_b32 v2, v28, v18, s8
	v_dual_cndmask_b32 v3, v18, v28, s8 :: v_dual_mov_b32 v18, v21
	s_delay_alu instid0(VALU_DEP_3)
	v_cmpx_gt_i32_e64 v5, v4
; %bb.34:
	v_dual_mov_b32 v25, v5 :: v_dual_mov_b32 v18, v16
	v_swap_b32 v5, v4
	v_mov_b32_e32 v16, v21
; %bb.35:
	s_or_b32 exec_lo, exec_lo, s11
	v_cndmask_b32_e64 v21, v6, v13, s6
	v_dual_cndmask_b32 v13, v19, v17, s7 :: v_dual_cndmask_b32 v17, v17, v19, s7
	v_cndmask_b32_e64 v19, v24, v20, s8
	v_cndmask_b32_e64 v20, v20, v24, s8
.LBB11_36:
	s_or_b32 exec_lo, exec_lo, s10
	v_and_b32_e32 v6, 30, v15
	v_mad_u32_u24 v12, 0x384, v22, v12
	s_mov_b32 s8, 0
	s_mov_b32 s7, exec_lo
	s_delay_alu instid0(VALU_DEP_2)
	v_mul_u32_u24_e32 v6, 7, v6
	; wave barrier
	ds_store_2addr_b32 v12, v0, v1 offset1:1
	ds_store_2addr_b32 v12, v2, v3 offset0:2 offset1:3
	ds_store_2addr_b32 v12, v4, v5 offset0:4 offset1:5
	ds_store_b32 v12, v23 offset:24
	; wave barrier
	v_min_i32_e32 v26, v7, v6
	s_delay_alu instid0(VALU_DEP_1) | instskip(SKIP_1) | instid1(VALU_DEP_2)
	v_add_min_i32_e64 v24, v26, 7, v7
	v_dual_lshlrev_b32 v31, 2, v26 :: v_dual_bitop2_b32 v6, 1, v15 bitop3:0x40
	v_sub_nc_u32_e32 v29, v24, v26
	s_delay_alu instid0(VALU_DEP_2) | instskip(SKIP_1) | instid1(VALU_DEP_2)
	v_cmp_eq_u32_e64 s6, 1, v6
	v_add_min_i32_e64 v25, v24, 7, v7
	v_cndmask_b32_e64 v6, 0, 7, s6
	s_delay_alu instid0(VALU_DEP_1) | instskip(SKIP_2) | instid1(VALU_DEP_3)
	v_dual_sub_nc_u32 v28, v25, v24 :: v_dual_min_i32 v27, v7, v6
	v_mul_u32_u24_e32 v6, 0x384, v22
	v_mad_u32_u24 v22, 0x384, v22, v31
	v_sub_nc_u32_e32 v30, v27, v28
	v_cmp_ge_i32_e64 s6, v27, v28
	s_delay_alu instid0(VALU_DEP_1) | instskip(NEXT) | instid1(VALU_DEP_1)
	v_dual_cndmask_b32 v28, 0, v30, s6 :: v_dual_min_i32 v29, v27, v29
	v_cmpx_lt_i32_e64 v28, v29
	s_cbranch_execz .LBB11_40
; %bb.37:
	v_dual_lshlrev_b32 v0, 2, v24 :: v_dual_lshlrev_b32 v1, 2, v27
	s_delay_alu instid0(VALU_DEP_1)
	v_add3_u32 v0, v6, v0, v1
.LBB11_38:                              ; =>This Inner Loop Header: Depth=1
	v_sub_nc_u32_e32 v1, v29, v28
	s_delay_alu instid0(VALU_DEP_1) | instskip(NEXT) | instid1(VALU_DEP_1)
	v_lshrrev_b32_e32 v1, 1, v1
	v_add_nc_u32_e32 v1, v1, v28
	s_delay_alu instid0(VALU_DEP_1) | instskip(SKIP_1) | instid1(VALU_DEP_2)
	v_not_b32_e32 v2, v1
	v_lshl_add_u32 v3, v1, 2, v22
	v_lshl_add_u32 v2, v2, 2, v0
	ds_load_b32 v3, v3
	ds_load_b32 v2, v2
	s_wait_dscnt 0x0
	v_cmp_gt_i32_e64 s6, v2, v3
	s_delay_alu instid0(VALU_DEP_1) | instskip(NEXT) | instid1(VALU_DEP_1)
	v_dual_add_nc_u32 v4, 1, v1 :: v_dual_cndmask_b32 v29, v29, v1, s6
	v_cndmask_b32_e64 v28, v4, v28, s6
	s_delay_alu instid0(VALU_DEP_1) | instskip(SKIP_1) | instid1(SALU_CYCLE_1)
	v_cmp_ge_i32_e64 s6, v28, v29
	s_or_b32 s8, s6, s8
	s_and_not1_b32 exec_lo, exec_lo, s8
	s_cbranch_execnz .LBB11_38
; %bb.39:
	s_or_b32 exec_lo, exec_lo, s8
.LBB11_40:
	s_delay_alu instid0(SALU_CYCLE_1) | instskip(SKIP_3) | instid1(VALU_DEP_3)
	s_or_b32 exec_lo, exec_lo, s7
	v_add_nc_u32_e32 v0, v24, v27
	v_lshl_add_u32 v3, v28, 2, v22
	v_add_nc_u32_e32 v1, v28, v26
                                        ; implicit-def: $vgpr26
	v_sub_nc_u32_e32 v0, v0, v28
	s_delay_alu instid0(VALU_DEP_2) | instskip(NEXT) | instid1(VALU_DEP_2)
	v_cmp_le_i32_e64 s6, v24, v1
	v_lshl_add_u32 v2, v0, 2, v6
	v_cmp_gt_i32_e64 s8, v25, v0
	ds_load_b32 v22, v3
	ds_load_b32 v23, v2
	s_wait_dscnt 0x0
	v_cmp_gt_i32_e64 s7, v23, v22
	s_or_b32 s6, s6, s7
	s_delay_alu instid0(SALU_CYCLE_1) | instskip(NEXT) | instid1(SALU_CYCLE_1)
	s_and_b32 s6, s8, s6
	s_xor_b32 s7, s6, -1
	s_delay_alu instid0(SALU_CYCLE_1) | instskip(NEXT) | instid1(SALU_CYCLE_1)
	s_and_saveexec_b32 s8, s7
	s_xor_b32 s7, exec_lo, s8
; %bb.41:
	ds_load_b32 v26, v3 offset:4
                                        ; implicit-def: $vgpr2
; %bb.42:
	s_or_saveexec_b32 s7, s7
	v_mov_b32_e32 v27, v23
	s_xor_b32 exec_lo, exec_lo, s7
	s_cbranch_execz .LBB11_44
; %bb.43:
	ds_load_b32 v27, v2 offset:4
	s_wait_dscnt 0x1
	v_mov_b32_e32 v26, v22
.LBB11_44:
	s_or_b32 exec_lo, exec_lo, s7
	v_dual_add_nc_u32 v2, 1, v1 :: v_dual_add_nc_u32 v3, 1, v0
	s_wait_dscnt 0x0
	s_delay_alu instid0(VALU_DEP_2) | instskip(NEXT) | instid1(VALU_DEP_2)
	v_cmp_gt_i32_e64 s8, v27, v26
                                        ; implicit-def: $vgpr28
	v_dual_cndmask_b32 v2, v2, v1, s6 :: v_dual_cndmask_b32 v3, v0, v3, s6
	s_delay_alu instid0(VALU_DEP_1) | instskip(NEXT) | instid1(VALU_DEP_2)
	v_cmp_ge_i32_e64 s7, v2, v24
	v_cmp_lt_i32_e64 s9, v3, v25
	s_or_b32 s7, s7, s8
	s_delay_alu instid0(SALU_CYCLE_1) | instskip(NEXT) | instid1(SALU_CYCLE_1)
	s_and_b32 s7, s9, s7
	s_xor_b32 s8, s7, -1
	s_delay_alu instid0(SALU_CYCLE_1) | instskip(NEXT) | instid1(SALU_CYCLE_1)
	s_and_saveexec_b32 s9, s8
	s_xor_b32 s8, exec_lo, s9
; %bb.45:
	v_lshl_add_u32 v4, v2, 2, v6
	ds_load_b32 v28, v4 offset:4
; %bb.46:
	s_or_saveexec_b32 s8, s8
	v_mov_b32_e32 v29, v27
	s_xor_b32 exec_lo, exec_lo, s8
	s_cbranch_execz .LBB11_48
; %bb.47:
	v_lshl_add_u32 v4, v3, 2, v6
	s_wait_dscnt 0x0
	v_mov_b32_e32 v28, v26
	ds_load_b32 v29, v4 offset:4
.LBB11_48:
	s_or_b32 exec_lo, exec_lo, s8
	v_dual_add_nc_u32 v4, 1, v2 :: v_dual_add_nc_u32 v5, 1, v3
	s_wait_dscnt 0x0
	v_cmp_gt_i32_e64 s9, v29, v28
                                        ; implicit-def: $vgpr30
	s_delay_alu instid0(VALU_DEP_2) | instskip(NEXT) | instid1(VALU_DEP_1)
	v_dual_cndmask_b32 v4, v4, v2, s7 :: v_dual_cndmask_b32 v5, v3, v5, s7
	v_cmp_ge_i32_e64 s8, v4, v24
	s_delay_alu instid0(VALU_DEP_2) | instskip(SKIP_1) | instid1(SALU_CYCLE_1)
	v_cmp_lt_i32_e64 s10, v5, v25
	s_or_b32 s8, s8, s9
	s_and_b32 s8, s10, s8
	s_delay_alu instid0(SALU_CYCLE_1) | instskip(NEXT) | instid1(SALU_CYCLE_1)
	s_xor_b32 s9, s8, -1
	s_and_saveexec_b32 s10, s9
	s_delay_alu instid0(SALU_CYCLE_1)
	s_xor_b32 s9, exec_lo, s10
; %bb.49:
	v_lshl_add_u32 v30, v4, 2, v6
	ds_load_b32 v30, v30 offset:4
; %bb.50:
	s_or_saveexec_b32 s9, s9
	v_mov_b32_e32 v31, v29
	s_xor_b32 exec_lo, exec_lo, s9
	s_cbranch_execz .LBB11_52
; %bb.51:
	s_wait_dscnt 0x0
	v_lshl_add_u32 v30, v5, 2, v6
	ds_load_b32 v31, v30 offset:4
	v_mov_b32_e32 v30, v28
.LBB11_52:
	s_or_b32 exec_lo, exec_lo, s9
	v_dual_add_nc_u32 v32, 1, v4 :: v_dual_add_nc_u32 v33, 1, v5
	s_wait_dscnt 0x0
	s_delay_alu instid0(VALU_DEP_2) | instskip(NEXT) | instid1(VALU_DEP_2)
	v_cmp_gt_i32_e64 s10, v31, v30
                                        ; implicit-def: $vgpr34
	v_dual_cndmask_b32 v32, v32, v4, s8 :: v_dual_cndmask_b32 v33, v5, v33, s8
	s_delay_alu instid0(VALU_DEP_1) | instskip(NEXT) | instid1(VALU_DEP_2)
	v_cmp_ge_i32_e64 s9, v32, v24
	v_cmp_lt_i32_e64 s11, v33, v25
	s_or_b32 s9, s9, s10
	s_delay_alu instid0(SALU_CYCLE_1) | instskip(NEXT) | instid1(SALU_CYCLE_1)
	s_and_b32 s9, s11, s9
	s_xor_b32 s10, s9, -1
	s_delay_alu instid0(SALU_CYCLE_1) | instskip(NEXT) | instid1(SALU_CYCLE_1)
	s_and_saveexec_b32 s11, s10
	s_xor_b32 s10, exec_lo, s11
; %bb.53:
	v_lshl_add_u32 v34, v32, 2, v6
	ds_load_b32 v34, v34 offset:4
; %bb.54:
	s_or_saveexec_b32 s10, s10
	v_mov_b32_e32 v35, v31
	s_xor_b32 exec_lo, exec_lo, s10
	s_cbranch_execz .LBB11_56
; %bb.55:
	s_wait_dscnt 0x0
	v_lshl_add_u32 v34, v33, 2, v6
	ds_load_b32 v35, v34 offset:4
	v_mov_b32_e32 v34, v30
.LBB11_56:
	s_or_b32 exec_lo, exec_lo, s10
	v_dual_add_nc_u32 v36, 1, v32 :: v_dual_add_nc_u32 v38, 1, v33
	s_wait_dscnt 0x0
	s_delay_alu instid0(VALU_DEP_2) | instskip(NEXT) | instid1(VALU_DEP_2)
	v_cmp_gt_i32_e64 s11, v35, v34
                                        ; implicit-def: $vgpr40
	v_dual_cndmask_b32 v37, v36, v32, s9 :: v_dual_cndmask_b32 v38, v33, v38, s9
	s_delay_alu instid0(VALU_DEP_1) | instskip(NEXT) | instid1(VALU_DEP_2)
	v_cmp_ge_i32_e64 s10, v37, v24
	v_cmp_lt_i32_e64 s12, v38, v25
	s_or_b32 s10, s10, s11
	s_delay_alu instid0(SALU_CYCLE_1) | instskip(NEXT) | instid1(SALU_CYCLE_1)
	s_and_b32 s10, s12, s10
	s_xor_b32 s11, s10, -1
	s_delay_alu instid0(SALU_CYCLE_1) | instskip(NEXT) | instid1(SALU_CYCLE_1)
	s_and_saveexec_b32 s12, s11
	s_xor_b32 s11, exec_lo, s12
; %bb.57:
	v_lshl_add_u32 v36, v37, 2, v6
	ds_load_b32 v40, v36 offset:4
; %bb.58:
	s_or_saveexec_b32 s11, s11
	v_mov_b32_e32 v41, v35
	s_xor_b32 exec_lo, exec_lo, s11
	s_cbranch_execz .LBB11_60
; %bb.59:
	v_lshl_add_u32 v36, v38, 2, v6
	s_wait_dscnt 0x0
	v_mov_b32_e32 v40, v34
	ds_load_b32 v41, v36 offset:4
.LBB11_60:
	s_or_b32 exec_lo, exec_lo, s11
	v_dual_add_nc_u32 v36, 1, v37 :: v_dual_add_nc_u32 v39, 1, v38
	s_wait_dscnt 0x0
	v_cmp_gt_i32_e64 s12, v41, v40
	s_delay_alu instid0(VALU_DEP_2) | instskip(NEXT) | instid1(VALU_DEP_1)
	v_dual_cndmask_b32 v43, v36, v37, s10 :: v_dual_cndmask_b32 v42, v38, v39, s10
                                        ; implicit-def: $vgpr36
	v_cmp_ge_i32_e64 s11, v43, v24
	s_delay_alu instid0(VALU_DEP_2) | instskip(SKIP_1) | instid1(SALU_CYCLE_1)
	v_cmp_lt_i32_e64 s13, v42, v25
	s_or_b32 s11, s11, s12
	s_and_b32 s11, s13, s11
	s_delay_alu instid0(SALU_CYCLE_1) | instskip(NEXT) | instid1(SALU_CYCLE_1)
	s_xor_b32 s12, s11, -1
	s_and_saveexec_b32 s13, s12
	s_delay_alu instid0(SALU_CYCLE_1)
	s_xor_b32 s12, exec_lo, s13
; %bb.61:
	v_lshl_add_u32 v36, v43, 2, v6
	ds_load_b32 v36, v36 offset:4
; %bb.62:
	s_or_saveexec_b32 s12, s12
	v_mov_b32_e32 v39, v41
	s_xor_b32 exec_lo, exec_lo, s12
	s_cbranch_execz .LBB11_64
; %bb.63:
	s_wait_dscnt 0x0
	v_lshl_add_u32 v36, v42, 2, v6
	ds_load_b32 v39, v36 offset:4
	v_mov_b32_e32 v36, v40
.LBB11_64:
	s_or_b32 exec_lo, exec_lo, s12
	v_dual_add_nc_u32 v44, 1, v43 :: v_dual_cndmask_b32 v40, v40, v41, s11
	v_dual_add_nc_u32 v41, 1, v42 :: v_dual_cndmask_b32 v45, v43, v42, s11
	v_dual_cndmask_b32 v34, v34, v35, s10 :: v_dual_cndmask_b32 v37, v37, v38, s10
	s_delay_alu instid0(VALU_DEP_3) | instskip(SKIP_1) | instid1(VALU_DEP_4)
	v_cndmask_b32_e64 v35, v44, v43, s11
	v_dual_cndmask_b32 v30, v30, v31, s9 :: v_dual_cndmask_b32 v32, v32, v33, s9
	v_dual_cndmask_b32 v31, v42, v41, s11 :: v_dual_cndmask_b32 v0, v1, v0, s6
	v_and_b32_e32 v1, 28, v15
	s_delay_alu instid0(VALU_DEP_4)
	v_cmp_ge_i32_e64 s9, v35, v24
	s_wait_dscnt 0x0
	v_cmp_gt_i32_e64 s10, v39, v36
	v_cmp_lt_i32_e64 s11, v31, v25
	v_mul_u32_u24_e32 v1, 7, v1
	; wave barrier
	s_or_b32 s9, s9, s10
	ds_store_2addr_b32 v12, v17, v13 offset1:1
	ds_store_2addr_b32 v12, v20, v19 offset0:2 offset1:3
	ds_store_2addr_b32 v12, v18, v16 offset0:4 offset1:5
	ds_store_b32 v12, v21 offset:24
	s_and_b32 s9, s11, s9
	s_delay_alu instid0(SALU_CYCLE_1) | instskip(SKIP_2) | instid1(VALU_DEP_3)
	v_dual_cndmask_b32 v25, v36, v39, s9 :: v_dual_min_i32 v20, v7, v1
	v_dual_cndmask_b32 v4, v4, v5, s8 :: v_dual_cndmask_b32 v2, v2, v3, s7
	v_lshl_add_u32 v0, v0, 2, v6
	v_add_min_i32_e64 v16, v20, 14, v7
	v_lshl_add_u32 v5, v32, 2, v6
	s_delay_alu instid0(VALU_DEP_4)
	v_lshl_add_u32 v4, v4, 2, v6
	v_lshl_add_u32 v2, v2, 2, v6
	;; [unrolled: 1-line block ×3, first 2 shown]
	v_add_min_i32_e64 v17, v16, 14, v7
	v_cndmask_b32_e64 v3, v35, v31, s9
	; wave barrier
	v_lshl_add_u32 v19, v45, 2, v6
	s_delay_alu instid0(VALU_DEP_3) | instskip(NEXT) | instid1(VALU_DEP_3)
	v_dual_sub_nc_u32 v24, v17, v16 :: v_dual_bitop2_b32 v1, 3, v15 bitop3:0x40
	v_lshl_add_u32 v21, v3, 2, v6
	v_dual_cndmask_b32 v28, v28, v29, s8 :: v_dual_cndmask_b32 v26, v26, v27, s7
	v_cndmask_b32_e64 v22, v22, v23, s6
	s_delay_alu instid0(VALU_DEP_4) | instskip(SKIP_1) | instid1(VALU_DEP_1)
	v_mul_u32_u24_e32 v1, 7, v1
	s_mov_b32 s8, 0
	v_dual_sub_nc_u32 v31, v16, v20 :: v_dual_min_i32 v18, v7, v1
	ds_load_b32 v0, v0
	ds_load_b32 v1, v2
	;; [unrolled: 1-line block ×7, first 2 shown]
	; wave barrier
	ds_store_2addr_b32 v12, v22, v26 offset1:1
	ds_store_2addr_b32 v12, v28, v30 offset0:2 offset1:3
	ds_store_2addr_b32 v12, v34, v40 offset0:4 offset1:5
	ds_store_b32 v12, v25 offset:24
	v_sub_nc_u32_e32 v19, v18, v24
	v_cmp_ge_i32_e64 s7, v18, v24
	v_min_i32_e32 v24, v18, v31
	; wave barrier
	s_delay_alu instid0(VALU_DEP_2) | instskip(SKIP_2) | instid1(VALU_DEP_2)
	v_cndmask_b32_e64 v21, 0, v19, s7
	v_lshl_add_u32 v19, v20, 2, v6
	s_mov_b32 s7, exec_lo
	v_cmpx_lt_i32_e64 v21, v24
	s_cbranch_execz .LBB11_68
; %bb.65:
	v_dual_lshlrev_b32 v22, 2, v16 :: v_dual_lshlrev_b32 v23, 2, v18
	s_delay_alu instid0(VALU_DEP_1)
	v_add3_u32 v22, v6, v22, v23
.LBB11_66:                              ; =>This Inner Loop Header: Depth=1
	v_sub_nc_u32_e32 v23, v24, v21
	s_delay_alu instid0(VALU_DEP_1) | instskip(NEXT) | instid1(VALU_DEP_1)
	v_lshrrev_b32_e32 v23, 1, v23
	v_add_nc_u32_e32 v23, v23, v21
	s_delay_alu instid0(VALU_DEP_1) | instskip(SKIP_1) | instid1(VALU_DEP_2)
	v_not_b32_e32 v25, v23
	v_lshl_add_u32 v26, v23, 2, v19
	v_lshl_add_u32 v25, v25, 2, v22
	ds_load_b32 v26, v26
	ds_load_b32 v25, v25
	s_wait_dscnt 0x0
	v_cmp_gt_i32_e64 s6, v25, v26
	s_delay_alu instid0(VALU_DEP_1) | instskip(NEXT) | instid1(VALU_DEP_1)
	v_dual_add_nc_u32 v27, 1, v23 :: v_dual_cndmask_b32 v24, v24, v23, s6
	v_cndmask_b32_e64 v21, v27, v21, s6
	s_delay_alu instid0(VALU_DEP_1) | instskip(SKIP_1) | instid1(SALU_CYCLE_1)
	v_cmp_ge_i32_e64 s6, v21, v24
	s_or_b32 s8, s6, s8
	s_and_not1_b32 exec_lo, exec_lo, s8
	s_cbranch_execnz .LBB11_66
; %bb.67:
	s_or_b32 exec_lo, exec_lo, s8
.LBB11_68:
	s_delay_alu instid0(SALU_CYCLE_1) | instskip(SKIP_2) | instid1(VALU_DEP_2)
	s_or_b32 exec_lo, exec_lo, s7
	v_dual_add_nc_u32 v18, v16, v18 :: v_dual_add_nc_u32 v25, v21, v20
	v_lshl_add_u32 v23, v21, 2, v19
                                        ; implicit-def: $vgpr20
	v_sub_nc_u32_e32 v24, v18, v21
	s_delay_alu instid0(VALU_DEP_3) | instskip(NEXT) | instid1(VALU_DEP_2)
	v_cmp_le_i32_e64 s6, v16, v25
	v_lshl_add_u32 v22, v24, 2, v6
	v_cmp_gt_i32_e64 s8, v17, v24
	ds_load_b32 v18, v23
	ds_load_b32 v19, v22
	s_wait_dscnt 0x0
	v_cmp_gt_i32_e64 s7, v19, v18
	s_or_b32 s6, s6, s7
	s_delay_alu instid0(SALU_CYCLE_1) | instskip(NEXT) | instid1(SALU_CYCLE_1)
	s_and_b32 s6, s8, s6
	s_xor_b32 s7, s6, -1
	s_delay_alu instid0(SALU_CYCLE_1) | instskip(NEXT) | instid1(SALU_CYCLE_1)
	s_and_saveexec_b32 s8, s7
	s_xor_b32 s7, exec_lo, s8
; %bb.69:
	ds_load_b32 v20, v23 offset:4
                                        ; implicit-def: $vgpr22
; %bb.70:
	s_or_saveexec_b32 s7, s7
	v_mov_b32_e32 v21, v19
	s_xor_b32 exec_lo, exec_lo, s7
	s_cbranch_execz .LBB11_72
; %bb.71:
	ds_load_b32 v21, v22 offset:4
	s_wait_dscnt 0x1
	v_mov_b32_e32 v20, v18
.LBB11_72:
	s_or_b32 exec_lo, exec_lo, s7
	v_dual_add_nc_u32 v22, 1, v25 :: v_dual_add_nc_u32 v23, 1, v24
	s_wait_dscnt 0x0
	s_delay_alu instid0(VALU_DEP_2) | instskip(NEXT) | instid1(VALU_DEP_2)
	v_cmp_gt_i32_e64 s8, v21, v20
	v_dual_cndmask_b32 v26, v22, v25, s6 :: v_dual_cndmask_b32 v27, v24, v23, s6
                                        ; implicit-def: $vgpr22
	s_delay_alu instid0(VALU_DEP_1) | instskip(NEXT) | instid1(VALU_DEP_2)
	v_cmp_ge_i32_e64 s7, v26, v16
	v_cmp_lt_i32_e64 s9, v27, v17
	s_or_b32 s7, s7, s8
	s_delay_alu instid0(SALU_CYCLE_1) | instskip(NEXT) | instid1(SALU_CYCLE_1)
	s_and_b32 s7, s9, s7
	s_xor_b32 s8, s7, -1
	s_delay_alu instid0(SALU_CYCLE_1) | instskip(NEXT) | instid1(SALU_CYCLE_1)
	s_and_saveexec_b32 s9, s8
	s_xor_b32 s8, exec_lo, s9
; %bb.73:
	v_lshl_add_u32 v22, v26, 2, v6
	ds_load_b32 v22, v22 offset:4
; %bb.74:
	s_or_saveexec_b32 s8, s8
	v_mov_b32_e32 v23, v21
	s_xor_b32 exec_lo, exec_lo, s8
	s_cbranch_execz .LBB11_76
; %bb.75:
	s_wait_dscnt 0x0
	v_lshl_add_u32 v22, v27, 2, v6
	ds_load_b32 v23, v22 offset:4
	v_mov_b32_e32 v22, v20
.LBB11_76:
	s_or_b32 exec_lo, exec_lo, s8
	v_dual_add_nc_u32 v28, 1, v26 :: v_dual_add_nc_u32 v29, 1, v27
	s_wait_dscnt 0x0
	s_delay_alu instid0(VALU_DEP_2) | instskip(NEXT) | instid1(VALU_DEP_2)
	v_cmp_gt_i32_e64 s9, v23, v22
                                        ; implicit-def: $vgpr30
	v_dual_cndmask_b32 v28, v28, v26, s7 :: v_dual_cndmask_b32 v29, v27, v29, s7
	s_delay_alu instid0(VALU_DEP_1) | instskip(NEXT) | instid1(VALU_DEP_2)
	v_cmp_ge_i32_e64 s8, v28, v16
	v_cmp_lt_i32_e64 s10, v29, v17
	s_or_b32 s8, s8, s9
	s_delay_alu instid0(SALU_CYCLE_1) | instskip(NEXT) | instid1(SALU_CYCLE_1)
	s_and_b32 s8, s10, s8
	s_xor_b32 s9, s8, -1
	s_delay_alu instid0(SALU_CYCLE_1) | instskip(NEXT) | instid1(SALU_CYCLE_1)
	s_and_saveexec_b32 s10, s9
	s_xor_b32 s9, exec_lo, s10
; %bb.77:
	v_lshl_add_u32 v30, v28, 2, v6
	ds_load_b32 v30, v30 offset:4
; %bb.78:
	s_or_saveexec_b32 s9, s9
	v_mov_b32_e32 v31, v23
	s_xor_b32 exec_lo, exec_lo, s9
	s_cbranch_execz .LBB11_80
; %bb.79:
	s_wait_dscnt 0x0
	v_lshl_add_u32 v30, v29, 2, v6
	ds_load_b32 v31, v30 offset:4
	v_mov_b32_e32 v30, v22
.LBB11_80:
	s_or_b32 exec_lo, exec_lo, s9
	v_dual_add_nc_u32 v32, 1, v28 :: v_dual_add_nc_u32 v33, 1, v29
	s_wait_dscnt 0x0
	s_delay_alu instid0(VALU_DEP_2) | instskip(NEXT) | instid1(VALU_DEP_2)
	v_cmp_gt_i32_e64 s10, v31, v30
                                        ; implicit-def: $vgpr34
	v_dual_cndmask_b32 v32, v32, v28, s8 :: v_dual_cndmask_b32 v33, v29, v33, s8
	s_delay_alu instid0(VALU_DEP_1) | instskip(NEXT) | instid1(VALU_DEP_2)
	v_cmp_ge_i32_e64 s9, v32, v16
	v_cmp_lt_i32_e64 s11, v33, v17
	s_or_b32 s9, s9, s10
	s_delay_alu instid0(SALU_CYCLE_1) | instskip(NEXT) | instid1(SALU_CYCLE_1)
	s_and_b32 s9, s11, s9
	s_xor_b32 s10, s9, -1
	s_delay_alu instid0(SALU_CYCLE_1) | instskip(NEXT) | instid1(SALU_CYCLE_1)
	s_and_saveexec_b32 s11, s10
	s_xor_b32 s10, exec_lo, s11
; %bb.81:
	v_lshl_add_u32 v34, v32, 2, v6
	ds_load_b32 v34, v34 offset:4
; %bb.82:
	s_or_saveexec_b32 s10, s10
	v_mov_b32_e32 v35, v31
	s_xor_b32 exec_lo, exec_lo, s10
	s_cbranch_execz .LBB11_84
; %bb.83:
	s_wait_dscnt 0x0
	v_lshl_add_u32 v34, v33, 2, v6
	ds_load_b32 v35, v34 offset:4
	v_mov_b32_e32 v34, v30
.LBB11_84:
	s_or_b32 exec_lo, exec_lo, s10
	v_dual_add_nc_u32 v36, 1, v32 :: v_dual_add_nc_u32 v38, 1, v33
	s_wait_dscnt 0x0
	s_delay_alu instid0(VALU_DEP_2) | instskip(NEXT) | instid1(VALU_DEP_2)
	v_cmp_gt_i32_e64 s11, v35, v34
                                        ; implicit-def: $vgpr40
	v_dual_cndmask_b32 v37, v36, v32, s9 :: v_dual_cndmask_b32 v38, v33, v38, s9
	s_delay_alu instid0(VALU_DEP_1) | instskip(NEXT) | instid1(VALU_DEP_2)
	v_cmp_ge_i32_e64 s10, v37, v16
	v_cmp_lt_i32_e64 s12, v38, v17
	s_or_b32 s10, s10, s11
	s_delay_alu instid0(SALU_CYCLE_1) | instskip(NEXT) | instid1(SALU_CYCLE_1)
	s_and_b32 s10, s12, s10
	s_xor_b32 s11, s10, -1
	s_delay_alu instid0(SALU_CYCLE_1) | instskip(NEXT) | instid1(SALU_CYCLE_1)
	s_and_saveexec_b32 s12, s11
	s_xor_b32 s11, exec_lo, s12
; %bb.85:
	v_lshl_add_u32 v36, v37, 2, v6
	ds_load_b32 v40, v36 offset:4
; %bb.86:
	s_or_saveexec_b32 s11, s11
	v_mov_b32_e32 v41, v35
	s_xor_b32 exec_lo, exec_lo, s11
	s_cbranch_execz .LBB11_88
; %bb.87:
	v_lshl_add_u32 v36, v38, 2, v6
	s_wait_dscnt 0x0
	v_mov_b32_e32 v40, v34
	ds_load_b32 v41, v36 offset:4
.LBB11_88:
	s_or_b32 exec_lo, exec_lo, s11
	v_dual_add_nc_u32 v36, 1, v37 :: v_dual_add_nc_u32 v39, 1, v38
	s_wait_dscnt 0x0
	v_cmp_gt_i32_e64 s12, v41, v40
	s_delay_alu instid0(VALU_DEP_2) | instskip(NEXT) | instid1(VALU_DEP_1)
	v_dual_cndmask_b32 v43, v36, v37, s10 :: v_dual_cndmask_b32 v42, v38, v39, s10
                                        ; implicit-def: $vgpr36
	v_cmp_ge_i32_e64 s11, v43, v16
	s_delay_alu instid0(VALU_DEP_2) | instskip(SKIP_1) | instid1(SALU_CYCLE_1)
	v_cmp_lt_i32_e64 s13, v42, v17
	s_or_b32 s11, s11, s12
	s_and_b32 s11, s13, s11
	s_delay_alu instid0(SALU_CYCLE_1) | instskip(NEXT) | instid1(SALU_CYCLE_1)
	s_xor_b32 s12, s11, -1
	s_and_saveexec_b32 s13, s12
	s_delay_alu instid0(SALU_CYCLE_1)
	s_xor_b32 s12, exec_lo, s13
; %bb.89:
	v_lshl_add_u32 v36, v43, 2, v6
	ds_load_b32 v36, v36 offset:4
; %bb.90:
	s_or_saveexec_b32 s12, s12
	v_mov_b32_e32 v39, v41
	s_xor_b32 exec_lo, exec_lo, s12
	s_cbranch_execz .LBB11_92
; %bb.91:
	s_wait_dscnt 0x0
	v_lshl_add_u32 v36, v42, 2, v6
	ds_load_b32 v39, v36 offset:4
	v_mov_b32_e32 v36, v40
.LBB11_92:
	s_or_b32 exec_lo, exec_lo, s12
	v_dual_add_nc_u32 v44, 1, v43 :: v_dual_cndmask_b32 v40, v40, v41, s11
	v_dual_add_nc_u32 v41, 1, v42 :: v_dual_cndmask_b32 v45, v43, v42, s11
	v_dual_cndmask_b32 v34, v34, v35, s10 :: v_dual_cndmask_b32 v37, v37, v38, s10
	s_delay_alu instid0(VALU_DEP_3) | instskip(SKIP_1) | instid1(VALU_DEP_4)
	v_cndmask_b32_e64 v35, v44, v43, s11
	v_dual_cndmask_b32 v30, v30, v31, s9 :: v_dual_cndmask_b32 v32, v32, v33, s9
	v_cndmask_b32_e64 v31, v42, v41, s11
	s_wait_dscnt 0x0
	v_cmp_gt_i32_e64 s10, v39, v36
	v_cmp_ge_i32_e64 s9, v35, v16
	v_dual_cndmask_b32 v16, v25, v24, s6 :: v_dual_bitop2_b32 v24, 24, v15 bitop3:0x40
	v_cmp_lt_i32_e64 s11, v31, v17
	v_dual_cndmask_b32 v28, v28, v29, s8 :: v_dual_cndmask_b32 v17, v26, v27, s7
	s_or_b32 s9, s9, s10
	v_mul_u32_u24_e32 v24, 7, v24
	s_and_b32 s9, s11, s9
	s_delay_alu instid0(SALU_CYCLE_1) | instskip(NEXT) | instid1(VALU_DEP_2)
	v_cndmask_b32_e64 v26, v36, v39, s9
	; wave barrier
	v_min_i32_e32 v25, v7, v24
	ds_store_2addr_b32 v12, v0, v1 offset1:1
	ds_store_2addr_b32 v12, v2, v3 offset0:2 offset1:3
	ds_store_2addr_b32 v12, v4, v5 offset0:4 offset1:5
	ds_store_b32 v12, v13 offset:24
	v_lshl_add_u32 v0, v16, 2, v6
	v_lshl_add_u32 v2, v17, 2, v6
	;; [unrolled: 1-line block ×3, first 2 shown]
	v_add_min_i32_e64 v16, v25, 28, v7
	v_lshl_add_u32 v4, v32, 2, v6
	v_lshl_add_u32 v5, v37, 2, v6
	;; [unrolled: 1-line block ×3, first 2 shown]
	s_delay_alu instid0(VALU_DEP_4) | instskip(SKIP_2) | instid1(VALU_DEP_3)
	v_add_min_i32_e64 v17, v16, 28, v7
	v_cndmask_b32_e64 v27, v35, v31, s9
	; wave barrier
	v_dual_cndmask_b32 v22, v22, v23, s8 :: v_dual_cndmask_b32 v23, v20, v21, s7
	v_dual_cndmask_b32 v19, v18, v19, s6 :: v_dual_sub_nc_u32 v28, v17, v16
	v_and_b32_e32 v1, 7, v15
	s_delay_alu instid0(VALU_DEP_4) | instskip(SKIP_2) | instid1(VALU_DEP_3)
	v_lshl_add_u32 v27, v27, 2, v6
	v_lshl_add_u32 v18, v25, 2, v6
	s_mov_b32 s8, 0
	v_mul_u32_u24_e32 v1, 7, v1
	s_delay_alu instid0(VALU_DEP_1)
	v_min_i32_e32 v24, v7, v1
	ds_load_b32 v0, v0
	ds_load_b32 v1, v2
	;; [unrolled: 1-line block ×7, first 2 shown]
	; wave barrier
	ds_store_2addr_b32 v12, v19, v23 offset1:1
	ds_store_2addr_b32 v12, v22, v30 offset0:2 offset1:3
	ds_store_2addr_b32 v12, v34, v40 offset0:4 offset1:5
	ds_store_b32 v12, v26 offset:24
	v_sub_nc_u32_e32 v27, v24, v28
	v_cmp_ge_i32_e64 s7, v24, v28
	v_sub_nc_u32_e32 v29, v16, v25
	; wave barrier
	s_delay_alu instid0(VALU_DEP_1) | instskip(SKIP_1) | instid1(VALU_DEP_1)
	v_dual_cndmask_b32 v20, 0, v27, s7 :: v_dual_min_i32 v21, v24, v29
	s_mov_b32 s7, exec_lo
	v_cmpx_lt_i32_e64 v20, v21
	s_cbranch_execz .LBB11_96
; %bb.93:
	v_lshlrev_b32_e32 v19, 2, v16
	v_lshlrev_b32_e32 v22, 2, v24
	s_delay_alu instid0(VALU_DEP_1)
	v_add3_u32 v19, v6, v19, v22
.LBB11_94:                              ; =>This Inner Loop Header: Depth=1
	v_sub_nc_u32_e32 v22, v21, v20
	s_delay_alu instid0(VALU_DEP_1) | instskip(NEXT) | instid1(VALU_DEP_1)
	v_lshrrev_b32_e32 v22, 1, v22
	v_add_nc_u32_e32 v22, v22, v20
	s_delay_alu instid0(VALU_DEP_1) | instskip(SKIP_1) | instid1(VALU_DEP_2)
	v_not_b32_e32 v23, v22
	v_lshl_add_u32 v26, v22, 2, v18
	v_lshl_add_u32 v23, v23, 2, v19
	ds_load_b32 v26, v26
	ds_load_b32 v23, v23
	s_wait_dscnt 0x0
	v_cmp_gt_i32_e64 s6, v23, v26
	s_delay_alu instid0(VALU_DEP_1) | instskip(NEXT) | instid1(VALU_DEP_1)
	v_dual_add_nc_u32 v27, 1, v22 :: v_dual_cndmask_b32 v21, v21, v22, s6
	v_cndmask_b32_e64 v20, v27, v20, s6
	s_delay_alu instid0(VALU_DEP_1) | instskip(SKIP_1) | instid1(SALU_CYCLE_1)
	v_cmp_ge_i32_e64 s6, v20, v21
	s_or_b32 s8, s6, s8
	s_and_not1_b32 exec_lo, exec_lo, s8
	s_cbranch_execnz .LBB11_94
; %bb.95:
	s_or_b32 exec_lo, exec_lo, s8
.LBB11_96:
	s_delay_alu instid0(SALU_CYCLE_1) | instskip(SKIP_2) | instid1(VALU_DEP_2)
	s_or_b32 exec_lo, exec_lo, s7
	v_add_nc_u32_e32 v19, v16, v24
	v_lshl_add_u32 v21, v20, 2, v18
	v_dual_add_nc_u32 v25, v20, v25 :: v_dual_sub_nc_u32 v24, v19, v20
                                        ; implicit-def: $vgpr20
	s_delay_alu instid0(VALU_DEP_1) | instskip(NEXT) | instid1(VALU_DEP_2)
	v_cmp_le_i32_e64 s6, v16, v25
	v_lshl_add_u32 v22, v24, 2, v6
	v_cmp_gt_i32_e64 s8, v17, v24
	ds_load_b32 v18, v21
	ds_load_b32 v19, v22
	s_wait_dscnt 0x0
	v_cmp_gt_i32_e64 s7, v19, v18
	s_or_b32 s6, s6, s7
	s_delay_alu instid0(SALU_CYCLE_1) | instskip(NEXT) | instid1(SALU_CYCLE_1)
	s_and_b32 s6, s8, s6
	s_xor_b32 s7, s6, -1
	s_delay_alu instid0(SALU_CYCLE_1) | instskip(NEXT) | instid1(SALU_CYCLE_1)
	s_and_saveexec_b32 s8, s7
	s_xor_b32 s7, exec_lo, s8
; %bb.97:
	ds_load_b32 v20, v21 offset:4
                                        ; implicit-def: $vgpr22
; %bb.98:
	s_or_saveexec_b32 s7, s7
	v_mov_b32_e32 v21, v19
	s_xor_b32 exec_lo, exec_lo, s7
	s_cbranch_execz .LBB11_100
; %bb.99:
	ds_load_b32 v21, v22 offset:4
	s_wait_dscnt 0x1
	v_mov_b32_e32 v20, v18
.LBB11_100:
	s_or_b32 exec_lo, exec_lo, s7
	v_dual_add_nc_u32 v22, 1, v25 :: v_dual_add_nc_u32 v23, 1, v24
	s_wait_dscnt 0x0
	s_delay_alu instid0(VALU_DEP_2) | instskip(NEXT) | instid1(VALU_DEP_2)
	v_cmp_gt_i32_e64 s8, v21, v20
	v_dual_cndmask_b32 v26, v22, v25, s6 :: v_dual_cndmask_b32 v27, v24, v23, s6
                                        ; implicit-def: $vgpr22
	s_delay_alu instid0(VALU_DEP_1) | instskip(NEXT) | instid1(VALU_DEP_2)
	v_cmp_ge_i32_e64 s7, v26, v16
	v_cmp_lt_i32_e64 s9, v27, v17
	s_or_b32 s7, s7, s8
	s_delay_alu instid0(SALU_CYCLE_1) | instskip(NEXT) | instid1(SALU_CYCLE_1)
	s_and_b32 s7, s9, s7
	s_xor_b32 s8, s7, -1
	s_delay_alu instid0(SALU_CYCLE_1) | instskip(NEXT) | instid1(SALU_CYCLE_1)
	s_and_saveexec_b32 s9, s8
	s_xor_b32 s8, exec_lo, s9
; %bb.101:
	v_lshl_add_u32 v22, v26, 2, v6
	ds_load_b32 v22, v22 offset:4
; %bb.102:
	s_or_saveexec_b32 s8, s8
	v_mov_b32_e32 v23, v21
	s_xor_b32 exec_lo, exec_lo, s8
	s_cbranch_execz .LBB11_104
; %bb.103:
	s_wait_dscnt 0x0
	v_lshl_add_u32 v22, v27, 2, v6
	ds_load_b32 v23, v22 offset:4
	v_mov_b32_e32 v22, v20
.LBB11_104:
	s_or_b32 exec_lo, exec_lo, s8
	v_dual_add_nc_u32 v28, 1, v26 :: v_dual_add_nc_u32 v29, 1, v27
	s_wait_dscnt 0x0
	s_delay_alu instid0(VALU_DEP_2) | instskip(NEXT) | instid1(VALU_DEP_2)
	v_cmp_gt_i32_e64 s9, v23, v22
                                        ; implicit-def: $vgpr30
	v_dual_cndmask_b32 v28, v28, v26, s7 :: v_dual_cndmask_b32 v29, v27, v29, s7
	s_delay_alu instid0(VALU_DEP_1) | instskip(NEXT) | instid1(VALU_DEP_2)
	v_cmp_ge_i32_e64 s8, v28, v16
	v_cmp_lt_i32_e64 s10, v29, v17
	s_or_b32 s8, s8, s9
	s_delay_alu instid0(SALU_CYCLE_1) | instskip(NEXT) | instid1(SALU_CYCLE_1)
	s_and_b32 s8, s10, s8
	s_xor_b32 s9, s8, -1
	s_delay_alu instid0(SALU_CYCLE_1) | instskip(NEXT) | instid1(SALU_CYCLE_1)
	s_and_saveexec_b32 s10, s9
	s_xor_b32 s9, exec_lo, s10
; %bb.105:
	v_lshl_add_u32 v30, v28, 2, v6
	ds_load_b32 v30, v30 offset:4
; %bb.106:
	s_or_saveexec_b32 s9, s9
	v_mov_b32_e32 v31, v23
	s_xor_b32 exec_lo, exec_lo, s9
	s_cbranch_execz .LBB11_108
; %bb.107:
	s_wait_dscnt 0x0
	v_lshl_add_u32 v30, v29, 2, v6
	ds_load_b32 v31, v30 offset:4
	v_mov_b32_e32 v30, v22
.LBB11_108:
	s_or_b32 exec_lo, exec_lo, s9
	v_dual_add_nc_u32 v32, 1, v28 :: v_dual_add_nc_u32 v33, 1, v29
	s_wait_dscnt 0x0
	s_delay_alu instid0(VALU_DEP_2) | instskip(NEXT) | instid1(VALU_DEP_2)
	v_cmp_gt_i32_e64 s10, v31, v30
                                        ; implicit-def: $vgpr34
	v_dual_cndmask_b32 v32, v32, v28, s8 :: v_dual_cndmask_b32 v33, v29, v33, s8
	s_delay_alu instid0(VALU_DEP_1) | instskip(NEXT) | instid1(VALU_DEP_2)
	v_cmp_ge_i32_e64 s9, v32, v16
	v_cmp_lt_i32_e64 s11, v33, v17
	s_or_b32 s9, s9, s10
	s_delay_alu instid0(SALU_CYCLE_1) | instskip(NEXT) | instid1(SALU_CYCLE_1)
	s_and_b32 s9, s11, s9
	s_xor_b32 s10, s9, -1
	s_delay_alu instid0(SALU_CYCLE_1) | instskip(NEXT) | instid1(SALU_CYCLE_1)
	s_and_saveexec_b32 s11, s10
	s_xor_b32 s10, exec_lo, s11
; %bb.109:
	v_lshl_add_u32 v34, v32, 2, v6
	ds_load_b32 v34, v34 offset:4
; %bb.110:
	s_or_saveexec_b32 s10, s10
	v_mov_b32_e32 v35, v31
	s_xor_b32 exec_lo, exec_lo, s10
	s_cbranch_execz .LBB11_112
; %bb.111:
	s_wait_dscnt 0x0
	v_lshl_add_u32 v34, v33, 2, v6
	ds_load_b32 v35, v34 offset:4
	v_mov_b32_e32 v34, v30
.LBB11_112:
	s_or_b32 exec_lo, exec_lo, s10
	v_dual_add_nc_u32 v36, 1, v32 :: v_dual_add_nc_u32 v38, 1, v33
	s_wait_dscnt 0x0
	s_delay_alu instid0(VALU_DEP_2) | instskip(NEXT) | instid1(VALU_DEP_2)
	v_cmp_gt_i32_e64 s11, v35, v34
                                        ; implicit-def: $vgpr40
	v_dual_cndmask_b32 v37, v36, v32, s9 :: v_dual_cndmask_b32 v38, v33, v38, s9
	s_delay_alu instid0(VALU_DEP_1) | instskip(NEXT) | instid1(VALU_DEP_2)
	v_cmp_ge_i32_e64 s10, v37, v16
	v_cmp_lt_i32_e64 s12, v38, v17
	s_or_b32 s10, s10, s11
	s_delay_alu instid0(SALU_CYCLE_1) | instskip(NEXT) | instid1(SALU_CYCLE_1)
	s_and_b32 s10, s12, s10
	s_xor_b32 s11, s10, -1
	s_delay_alu instid0(SALU_CYCLE_1) | instskip(NEXT) | instid1(SALU_CYCLE_1)
	s_and_saveexec_b32 s12, s11
	s_xor_b32 s11, exec_lo, s12
; %bb.113:
	v_lshl_add_u32 v36, v37, 2, v6
	ds_load_b32 v40, v36 offset:4
; %bb.114:
	s_or_saveexec_b32 s11, s11
	v_mov_b32_e32 v41, v35
	s_xor_b32 exec_lo, exec_lo, s11
	s_cbranch_execz .LBB11_116
; %bb.115:
	v_lshl_add_u32 v36, v38, 2, v6
	s_wait_dscnt 0x0
	v_mov_b32_e32 v40, v34
	ds_load_b32 v41, v36 offset:4
.LBB11_116:
	s_or_b32 exec_lo, exec_lo, s11
	v_dual_add_nc_u32 v36, 1, v37 :: v_dual_add_nc_u32 v39, 1, v38
	s_wait_dscnt 0x0
	v_cmp_gt_i32_e64 s12, v41, v40
	s_delay_alu instid0(VALU_DEP_2) | instskip(NEXT) | instid1(VALU_DEP_1)
	v_dual_cndmask_b32 v43, v36, v37, s10 :: v_dual_cndmask_b32 v42, v38, v39, s10
                                        ; implicit-def: $vgpr36
	v_cmp_ge_i32_e64 s11, v43, v16
	s_delay_alu instid0(VALU_DEP_2) | instskip(SKIP_1) | instid1(SALU_CYCLE_1)
	v_cmp_lt_i32_e64 s13, v42, v17
	s_or_b32 s11, s11, s12
	s_and_b32 s11, s13, s11
	s_delay_alu instid0(SALU_CYCLE_1) | instskip(NEXT) | instid1(SALU_CYCLE_1)
	s_xor_b32 s12, s11, -1
	s_and_saveexec_b32 s13, s12
	s_delay_alu instid0(SALU_CYCLE_1)
	s_xor_b32 s12, exec_lo, s13
; %bb.117:
	v_lshl_add_u32 v36, v43, 2, v6
	ds_load_b32 v36, v36 offset:4
; %bb.118:
	s_or_saveexec_b32 s12, s12
	v_mov_b32_e32 v39, v41
	s_xor_b32 exec_lo, exec_lo, s12
	s_cbranch_execz .LBB11_120
; %bb.119:
	s_wait_dscnt 0x0
	v_lshl_add_u32 v36, v42, 2, v6
	ds_load_b32 v39, v36 offset:4
	v_mov_b32_e32 v36, v40
.LBB11_120:
	s_or_b32 exec_lo, exec_lo, s12
	v_dual_add_nc_u32 v44, 1, v43 :: v_dual_cndmask_b32 v40, v40, v41, s11
	v_dual_add_nc_u32 v41, 1, v42 :: v_dual_cndmask_b32 v45, v43, v42, s11
	v_dual_cndmask_b32 v34, v34, v35, s10 :: v_dual_cndmask_b32 v37, v37, v38, s10
	s_delay_alu instid0(VALU_DEP_3) | instskip(SKIP_1) | instid1(VALU_DEP_4)
	v_cndmask_b32_e64 v35, v44, v43, s11
	v_dual_cndmask_b32 v30, v30, v31, s9 :: v_dual_cndmask_b32 v32, v32, v33, s9
	v_dual_cndmask_b32 v31, v42, v41, s11 :: v_dual_cndmask_b32 v25, v25, v24, s6
	v_and_b32_e32 v24, 16, v15
	s_delay_alu instid0(VALU_DEP_4)
	v_cmp_ge_i32_e64 s9, v35, v16
	s_wait_dscnt 0x0
	v_cmp_gt_i32_e64 s10, v39, v36
	v_cmp_lt_i32_e64 s11, v31, v17
	v_dual_cndmask_b32 v16, v28, v29, s8 :: v_dual_cndmask_b32 v17, v26, v27, s7
	v_mul_u32_u24_e32 v24, 7, v24
	s_or_b32 s9, s9, s10
	s_delay_alu instid0(SALU_CYCLE_1)
	s_and_b32 s9, s11, s9
	; wave barrier
	s_delay_alu instid0(VALU_DEP_1) | instid1(SALU_CYCLE_1)
	v_dual_cndmask_b32 v26, v36, v39, s9 :: v_dual_min_i32 v24, v7, v24
	ds_store_2addr_b32 v12, v0, v1 offset1:1
	ds_store_2addr_b32 v12, v2, v3 offset0:2 offset1:3
	ds_store_2addr_b32 v12, v4, v5 offset0:4 offset1:5
	ds_store_b32 v12, v13 offset:24
	v_and_b32_e32 v1, 15, v15
	v_cndmask_b32_e64 v27, v35, v31, s9
	v_lshl_add_u32 v3, v16, 2, v6
	v_add_min_i32_e64 v15, v24, 56, v7
	v_lshl_add_u32 v0, v25, 2, v6
	v_dual_cndmask_b32 v22, v22, v23, s8 :: v_dual_cndmask_b32 v23, v20, v21, s7
	v_lshl_add_u32 v25, v27, 2, v6
	s_delay_alu instid0(VALU_DEP_4)
	v_add_min_i32_e64 v16, v15, 56, v7
	v_lshl_add_u32 v2, v17, 2, v6
	v_lshl_add_u32 v4, v32, 2, v6
	;; [unrolled: 1-line block ×4, first 2 shown]
	v_sub_nc_u32_e32 v27, v16, v15
	v_mul_u32_u24_e32 v1, 7, v1
	; wave barrier
	v_cndmask_b32_e64 v19, v18, v19, s6
	v_lshl_add_u32 v18, v24, 2, v6
	s_delay_alu instid0(VALU_DEP_3)
	v_min_i32_e32 v17, v7, v1
	ds_load_b32 v0, v0
	ds_load_b32 v1, v2
	;; [unrolled: 1-line block ×7, first 2 shown]
	v_sub_nc_u32_e32 v28, v15, v24
	s_mov_b32 s8, 0
	v_sub_nc_u32_e32 v25, v17, v27
	v_cmp_ge_i32_e64 s7, v17, v27
	s_delay_alu instid0(VALU_DEP_3) | instskip(NEXT) | instid1(VALU_DEP_2)
	v_min_i32_e32 v21, v17, v28
	; wave barrier
	v_cndmask_b32_e64 v20, 0, v25, s7
	s_mov_b32 s7, exec_lo
	ds_store_2addr_b32 v12, v19, v23 offset1:1
	ds_store_2addr_b32 v12, v22, v30 offset0:2 offset1:3
	ds_store_2addr_b32 v12, v34, v40 offset0:4 offset1:5
	ds_store_b32 v12, v26 offset:24
	; wave barrier
	v_cmpx_lt_i32_e64 v20, v21
	s_cbranch_execz .LBB11_124
; %bb.121:
	v_dual_lshlrev_b32 v19, 2, v15 :: v_dual_lshlrev_b32 v22, 2, v17
	s_delay_alu instid0(VALU_DEP_1)
	v_add3_u32 v19, v6, v19, v22
.LBB11_122:                             ; =>This Inner Loop Header: Depth=1
	v_sub_nc_u32_e32 v22, v21, v20
	s_delay_alu instid0(VALU_DEP_1) | instskip(NEXT) | instid1(VALU_DEP_1)
	v_lshrrev_b32_e32 v22, 1, v22
	v_add_nc_u32_e32 v22, v22, v20
	s_delay_alu instid0(VALU_DEP_1) | instskip(SKIP_1) | instid1(VALU_DEP_2)
	v_not_b32_e32 v23, v22
	v_lshl_add_u32 v25, v22, 2, v18
	v_lshl_add_u32 v23, v23, 2, v19
	ds_load_b32 v25, v25
	ds_load_b32 v23, v23
	s_wait_dscnt 0x0
	v_cmp_gt_i32_e64 s6, v23, v25
	s_delay_alu instid0(VALU_DEP_1) | instskip(NEXT) | instid1(VALU_DEP_1)
	v_dual_add_nc_u32 v26, 1, v22 :: v_dual_cndmask_b32 v21, v21, v22, s6
	v_cndmask_b32_e64 v20, v26, v20, s6
	s_delay_alu instid0(VALU_DEP_1) | instskip(SKIP_1) | instid1(SALU_CYCLE_1)
	v_cmp_ge_i32_e64 s6, v20, v21
	s_or_b32 s8, s6, s8
	s_and_not1_b32 exec_lo, exec_lo, s8
	s_cbranch_execnz .LBB11_122
; %bb.123:
	s_or_b32 exec_lo, exec_lo, s8
.LBB11_124:
	s_delay_alu instid0(SALU_CYCLE_1) | instskip(SKIP_2) | instid1(VALU_DEP_2)
	s_or_b32 exec_lo, exec_lo, s7
	v_dual_add_nc_u32 v17, v15, v17 :: v_dual_add_nc_u32 v23, v20, v24
	v_lshl_add_u32 v25, v20, 2, v18
                                        ; implicit-def: $vgpr19
	v_sub_nc_u32_e32 v22, v17, v20
	s_delay_alu instid0(VALU_DEP_3) | instskip(NEXT) | instid1(VALU_DEP_2)
	v_cmp_le_i32_e64 s6, v15, v23
	v_lshl_add_u32 v21, v22, 2, v6
	v_cmp_gt_i32_e64 s8, v16, v22
	ds_load_b32 v17, v25
	ds_load_b32 v18, v21
	s_wait_dscnt 0x0
	v_cmp_gt_i32_e64 s7, v18, v17
	s_or_b32 s6, s6, s7
	s_delay_alu instid0(SALU_CYCLE_1) | instskip(NEXT) | instid1(SALU_CYCLE_1)
	s_and_b32 s6, s8, s6
	s_xor_b32 s7, s6, -1
	s_delay_alu instid0(SALU_CYCLE_1) | instskip(NEXT) | instid1(SALU_CYCLE_1)
	s_and_saveexec_b32 s8, s7
	s_xor_b32 s7, exec_lo, s8
; %bb.125:
	ds_load_b32 v19, v25 offset:4
                                        ; implicit-def: $vgpr21
; %bb.126:
	s_or_saveexec_b32 s7, s7
	v_mov_b32_e32 v20, v18
	s_xor_b32 exec_lo, exec_lo, s7
	s_cbranch_execz .LBB11_128
; %bb.127:
	ds_load_b32 v20, v21 offset:4
	s_wait_dscnt 0x1
	v_mov_b32_e32 v19, v17
.LBB11_128:
	s_or_b32 exec_lo, exec_lo, s7
	v_dual_add_nc_u32 v21, 1, v23 :: v_dual_add_nc_u32 v24, 1, v22
	s_wait_dscnt 0x0
	s_delay_alu instid0(VALU_DEP_2) | instskip(NEXT) | instid1(VALU_DEP_2)
	v_cmp_gt_i32_e64 s8, v20, v19
	v_dual_cndmask_b32 v25, v21, v23, s6 :: v_dual_cndmask_b32 v26, v22, v24, s6
                                        ; implicit-def: $vgpr21
	s_delay_alu instid0(VALU_DEP_1) | instskip(NEXT) | instid1(VALU_DEP_2)
	v_cmp_ge_i32_e64 s7, v25, v15
	v_cmp_lt_i32_e64 s9, v26, v16
	s_or_b32 s7, s7, s8
	s_delay_alu instid0(SALU_CYCLE_1) | instskip(NEXT) | instid1(SALU_CYCLE_1)
	s_and_b32 s7, s9, s7
	s_xor_b32 s8, s7, -1
	s_delay_alu instid0(SALU_CYCLE_1) | instskip(NEXT) | instid1(SALU_CYCLE_1)
	s_and_saveexec_b32 s9, s8
	s_xor_b32 s8, exec_lo, s9
; %bb.129:
	v_lshl_add_u32 v21, v25, 2, v6
	ds_load_b32 v21, v21 offset:4
; %bb.130:
	s_or_saveexec_b32 s8, s8
	v_mov_b32_e32 v24, v20
	s_xor_b32 exec_lo, exec_lo, s8
	s_cbranch_execz .LBB11_132
; %bb.131:
	s_wait_dscnt 0x0
	v_lshl_add_u32 v21, v26, 2, v6
	ds_load_b32 v24, v21 offset:4
	v_mov_b32_e32 v21, v19
.LBB11_132:
	s_or_b32 exec_lo, exec_lo, s8
	v_dual_add_nc_u32 v27, 1, v25 :: v_dual_add_nc_u32 v28, 1, v26
	s_wait_dscnt 0x0
	s_delay_alu instid0(VALU_DEP_2) | instskip(NEXT) | instid1(VALU_DEP_2)
	v_cmp_gt_i32_e64 s9, v24, v21
                                        ; implicit-def: $vgpr29
	v_dual_cndmask_b32 v27, v27, v25, s7 :: v_dual_cndmask_b32 v28, v26, v28, s7
	s_delay_alu instid0(VALU_DEP_1) | instskip(NEXT) | instid1(VALU_DEP_2)
	v_cmp_ge_i32_e64 s8, v27, v15
	v_cmp_lt_i32_e64 s10, v28, v16
	s_or_b32 s8, s8, s9
	s_delay_alu instid0(SALU_CYCLE_1) | instskip(NEXT) | instid1(SALU_CYCLE_1)
	s_and_b32 s8, s10, s8
	s_xor_b32 s9, s8, -1
	s_delay_alu instid0(SALU_CYCLE_1) | instskip(NEXT) | instid1(SALU_CYCLE_1)
	s_and_saveexec_b32 s10, s9
	s_xor_b32 s9, exec_lo, s10
; %bb.133:
	v_lshl_add_u32 v29, v27, 2, v6
	ds_load_b32 v29, v29 offset:4
; %bb.134:
	s_or_saveexec_b32 s9, s9
	v_mov_b32_e32 v30, v24
	s_xor_b32 exec_lo, exec_lo, s9
	s_cbranch_execz .LBB11_136
; %bb.135:
	s_wait_dscnt 0x0
	v_lshl_add_u32 v29, v28, 2, v6
	ds_load_b32 v30, v29 offset:4
	v_mov_b32_e32 v29, v21
.LBB11_136:
	s_or_b32 exec_lo, exec_lo, s9
	v_dual_add_nc_u32 v31, 1, v27 :: v_dual_add_nc_u32 v32, 1, v28
	s_wait_dscnt 0x0
	s_delay_alu instid0(VALU_DEP_2) | instskip(NEXT) | instid1(VALU_DEP_2)
	v_cmp_gt_i32_e64 s10, v30, v29
                                        ; implicit-def: $vgpr33
	v_dual_cndmask_b32 v31, v31, v27, s8 :: v_dual_cndmask_b32 v32, v28, v32, s8
	s_delay_alu instid0(VALU_DEP_1) | instskip(NEXT) | instid1(VALU_DEP_2)
	v_cmp_ge_i32_e64 s9, v31, v15
	v_cmp_lt_i32_e64 s11, v32, v16
	s_or_b32 s9, s9, s10
	s_delay_alu instid0(SALU_CYCLE_1) | instskip(NEXT) | instid1(SALU_CYCLE_1)
	s_and_b32 s9, s11, s9
	s_xor_b32 s10, s9, -1
	s_delay_alu instid0(SALU_CYCLE_1) | instskip(NEXT) | instid1(SALU_CYCLE_1)
	s_and_saveexec_b32 s11, s10
	s_xor_b32 s10, exec_lo, s11
; %bb.137:
	v_lshl_add_u32 v33, v31, 2, v6
	ds_load_b32 v33, v33 offset:4
; %bb.138:
	s_or_saveexec_b32 s10, s10
	v_mov_b32_e32 v34, v30
	s_xor_b32 exec_lo, exec_lo, s10
	s_cbranch_execz .LBB11_140
; %bb.139:
	s_wait_dscnt 0x0
	v_lshl_add_u32 v33, v32, 2, v6
	ds_load_b32 v34, v33 offset:4
	v_mov_b32_e32 v33, v29
.LBB11_140:
	s_or_b32 exec_lo, exec_lo, s10
	v_dual_add_nc_u32 v35, 1, v31 :: v_dual_add_nc_u32 v36, 1, v32
	s_wait_dscnt 0x0
	s_delay_alu instid0(VALU_DEP_2) | instskip(NEXT) | instid1(VALU_DEP_2)
	v_cmp_gt_i32_e64 s11, v34, v33
                                        ; implicit-def: $vgpr37
	v_dual_cndmask_b32 v35, v35, v31, s9 :: v_dual_cndmask_b32 v36, v32, v36, s9
	s_delay_alu instid0(VALU_DEP_1) | instskip(NEXT) | instid1(VALU_DEP_2)
	v_cmp_ge_i32_e64 s10, v35, v15
	v_cmp_lt_i32_e64 s12, v36, v16
	s_or_b32 s10, s10, s11
	s_delay_alu instid0(SALU_CYCLE_1) | instskip(NEXT) | instid1(SALU_CYCLE_1)
	s_and_b32 s10, s12, s10
	s_xor_b32 s11, s10, -1
	s_delay_alu instid0(SALU_CYCLE_1) | instskip(NEXT) | instid1(SALU_CYCLE_1)
	s_and_saveexec_b32 s12, s11
	s_xor_b32 s11, exec_lo, s12
; %bb.141:
	v_lshl_add_u32 v37, v35, 2, v6
	ds_load_b32 v37, v37 offset:4
; %bb.142:
	s_or_saveexec_b32 s11, s11
	v_mov_b32_e32 v38, v34
	s_xor_b32 exec_lo, exec_lo, s11
	s_cbranch_execz .LBB11_144
; %bb.143:
	s_wait_dscnt 0x0
	v_lshl_add_u32 v37, v36, 2, v6
	ds_load_b32 v38, v37 offset:4
	v_mov_b32_e32 v37, v33
.LBB11_144:
	s_or_b32 exec_lo, exec_lo, s11
	v_dual_add_nc_u32 v39, 1, v35 :: v_dual_add_nc_u32 v40, 1, v36
	s_wait_dscnt 0x0
	s_delay_alu instid0(VALU_DEP_2) | instskip(NEXT) | instid1(VALU_DEP_2)
	v_cmp_gt_i32_e64 s12, v38, v37
	v_dual_cndmask_b32 v41, v39, v35, s10 :: v_dual_cndmask_b32 v40, v36, v40, s10
                                        ; implicit-def: $vgpr39
	s_delay_alu instid0(VALU_DEP_1) | instskip(NEXT) | instid1(VALU_DEP_2)
	v_cmp_ge_i32_e64 s11, v41, v15
	v_cmp_lt_i32_e64 s13, v40, v16
	s_or_b32 s11, s11, s12
	s_delay_alu instid0(SALU_CYCLE_1) | instskip(NEXT) | instid1(SALU_CYCLE_1)
	s_and_b32 s11, s13, s11
	s_xor_b32 s12, s11, -1
	s_delay_alu instid0(SALU_CYCLE_1) | instskip(NEXT) | instid1(SALU_CYCLE_1)
	s_and_saveexec_b32 s13, s12
	s_xor_b32 s12, exec_lo, s13
; %bb.145:
	v_lshl_add_u32 v39, v41, 2, v6
	ds_load_b32 v39, v39 offset:4
; %bb.146:
	s_or_saveexec_b32 s12, s12
	v_mov_b32_e32 v42, v38
	s_xor_b32 exec_lo, exec_lo, s12
	s_cbranch_execz .LBB11_148
; %bb.147:
	s_wait_dscnt 0x0
	v_lshl_add_u32 v39, v40, 2, v6
	ds_load_b32 v42, v39 offset:4
	v_mov_b32_e32 v39, v37
.LBB11_148:
	s_or_b32 exec_lo, exec_lo, s12
	v_dual_add_nc_u32 v43, 1, v41 :: v_dual_cndmask_b32 v37, v37, v38, s11
	v_dual_add_nc_u32 v38, 1, v40 :: v_dual_cndmask_b32 v44, v41, v40, s11
	s_delay_alu instid0(VALU_DEP_2) | instskip(NEXT) | instid1(VALU_DEP_2)
	v_dual_cndmask_b32 v33, v33, v34, s10 :: v_dual_cndmask_b32 v34, v43, v41, s11
	v_dual_cndmask_b32 v35, v35, v36, s10 :: v_dual_cndmask_b32 v36, v40, v38, s11
	s_wait_dscnt 0x0
	v_cmp_gt_i32_e64 s10, v42, v39
	v_cndmask_b32_e64 v29, v29, v30, s9
	v_cmp_ge_i32_e64 s11, v34, v15
	v_cndmask_b32_e64 v15, v31, v32, s9
	v_cmp_lt_i32_e64 s9, v36, v16
	v_dual_cndmask_b32 v16, v27, v28, s8 :: v_dual_cndmask_b32 v25, v25, v26, s7
	s_or_b32 s10, s11, s10
	s_delay_alu instid0(SALU_CYCLE_1) | instskip(NEXT) | instid1(SALU_CYCLE_1)
	s_and_b32 s9, s9, s10
	v_dual_cndmask_b32 v23, v23, v22, s6 :: v_dual_cndmask_b32 v27, v34, v36, s9
	v_dual_cndmask_b32 v26, v39, v42, s9 :: v_dual_min_i32 v22, 0, v7
	; wave barrier
	ds_store_2addr_b32 v12, v0, v1 offset1:1
	ds_store_2addr_b32 v12, v2, v3 offset0:2 offset1:3
	ds_store_2addr_b32 v12, v4, v5 offset0:4 offset1:5
	ds_store_b32 v12, v13 offset:24
	v_lshl_add_u32 v0, v23, 2, v6
	v_lshl_add_u32 v1, v25, 2, v6
	v_add_min_i32_e64 v3, 0x70, v22, v7
	v_lshl_add_u32 v2, v16, 2, v6
	v_lshl_add_u32 v4, v15, 2, v6
	;; [unrolled: 1-line block ×4, first 2 shown]
	; wave barrier
	v_add_min_i32_e64 v15, 0x70, v3, v7
	v_lshl_add_u32 v16, v27, 2, v6
	v_dual_cndmask_b32 v21, v21, v24, s8 :: v_dual_min_i32 v14, v7, v14
	ds_load_b32 v0, v0
	ds_load_b32 v1, v1
	;; [unrolled: 1-line block ×7, first 2 shown]
	v_sub_nc_u32_e32 v23, v15, v3
	v_sub_nc_u32_e32 v25, v3, v22
	v_dual_cndmask_b32 v24, v19, v20, s7 :: v_dual_cndmask_b32 v17, v17, v18, s6
	s_mov_b32 s8, 0
	s_delay_alu instid0(VALU_DEP_3)
	v_sub_nc_u32_e32 v16, v14, v23
	v_cmp_ge_i32_e64 s7, v14, v23
	v_min_i32_e32 v19, v14, v25
	; wave barrier
	ds_store_2addr_b32 v12, v17, v24 offset1:1
	ds_store_2addr_b32 v12, v21, v29 offset0:2 offset1:3
	ds_store_2addr_b32 v12, v33, v37 offset0:4 offset1:5
	ds_store_b32 v12, v26 offset:24
	v_cndmask_b32_e64 v20, 0, v16, s7
	v_lshl_add_u32 v16, v22, 2, v6
	s_mov_b32 s7, exec_lo
	; wave barrier
	s_delay_alu instid0(VALU_DEP_2)
	v_cmpx_lt_i32_e64 v20, v19
	s_cbranch_execz .LBB11_152
; %bb.149:
	v_dual_lshlrev_b32 v17, 2, v3 :: v_dual_lshlrev_b32 v18, 2, v14
	s_delay_alu instid0(VALU_DEP_1)
	v_add3_u32 v17, v6, v17, v18
.LBB11_150:                             ; =>This Inner Loop Header: Depth=1
	v_sub_nc_u32_e32 v18, v19, v20
	s_delay_alu instid0(VALU_DEP_1) | instskip(NEXT) | instid1(VALU_DEP_1)
	v_lshrrev_b32_e32 v18, 1, v18
	v_add_nc_u32_e32 v18, v18, v20
	s_delay_alu instid0(VALU_DEP_1) | instskip(SKIP_1) | instid1(VALU_DEP_2)
	v_not_b32_e32 v21, v18
	v_lshl_add_u32 v23, v18, 2, v16
	v_lshl_add_u32 v21, v21, 2, v17
	ds_load_b32 v23, v23
	ds_load_b32 v21, v21
	s_wait_dscnt 0x0
	v_cmp_gt_i32_e64 s6, v21, v23
	s_delay_alu instid0(VALU_DEP_1) | instskip(NEXT) | instid1(VALU_DEP_1)
	v_dual_add_nc_u32 v24, 1, v18 :: v_dual_cndmask_b32 v19, v19, v18, s6
	v_cndmask_b32_e64 v20, v24, v20, s6
	s_delay_alu instid0(VALU_DEP_1) | instskip(SKIP_1) | instid1(SALU_CYCLE_1)
	v_cmp_ge_i32_e64 s6, v20, v19
	s_or_b32 s8, s6, s8
	s_and_not1_b32 exec_lo, exec_lo, s8
	s_cbranch_execnz .LBB11_150
; %bb.151:
	s_or_b32 exec_lo, exec_lo, s8
.LBB11_152:
	s_delay_alu instid0(SALU_CYCLE_1) | instskip(SKIP_2) | instid1(VALU_DEP_2)
	s_or_b32 exec_lo, exec_lo, s7
	v_add_nc_u32_e32 v14, v3, v14
	v_lshl_add_u32 v18, v20, 2, v16
                                        ; implicit-def: $vgpr17
	v_dual_add_nc_u32 v21, v20, v22 :: v_dual_sub_nc_u32 v19, v14, v20
	s_delay_alu instid0(VALU_DEP_1) | instskip(NEXT) | instid1(VALU_DEP_2)
	v_cmp_le_i32_e64 s6, v3, v21
	v_lshl_add_u32 v23, v19, 2, v6
	v_cmp_gt_i32_e64 s8, v15, v19
	ds_load_b32 v14, v18
	ds_load_b32 v16, v23
	s_wait_dscnt 0x0
	v_cmp_gt_i32_e64 s7, v16, v14
	s_or_b32 s6, s6, s7
	s_delay_alu instid0(SALU_CYCLE_1) | instskip(NEXT) | instid1(SALU_CYCLE_1)
	s_and_b32 s6, s8, s6
	s_xor_b32 s7, s6, -1
	s_delay_alu instid0(SALU_CYCLE_1) | instskip(NEXT) | instid1(SALU_CYCLE_1)
	s_and_saveexec_b32 s8, s7
	s_xor_b32 s7, exec_lo, s8
; %bb.153:
	ds_load_b32 v17, v18 offset:4
                                        ; implicit-def: $vgpr23
; %bb.154:
	s_or_saveexec_b32 s7, s7
	v_mov_b32_e32 v18, v16
	s_xor_b32 exec_lo, exec_lo, s7
	s_cbranch_execz .LBB11_156
; %bb.155:
	ds_load_b32 v18, v23 offset:4
	s_wait_dscnt 0x1
	v_mov_b32_e32 v17, v14
.LBB11_156:
	s_or_b32 exec_lo, exec_lo, s7
	v_dual_add_nc_u32 v20, 1, v21 :: v_dual_add_nc_u32 v22, 1, v19
	s_wait_dscnt 0x0
	s_delay_alu instid0(VALU_DEP_2) | instskip(NEXT) | instid1(VALU_DEP_2)
	v_cmp_gt_i32_e64 s8, v18, v17
	v_dual_cndmask_b32 v25, v20, v21, s6 :: v_dual_cndmask_b32 v26, v19, v22, s6
                                        ; implicit-def: $vgpr20
	s_delay_alu instid0(VALU_DEP_1) | instskip(NEXT) | instid1(VALU_DEP_2)
	v_cmp_ge_i32_e64 s7, v25, v3
	v_cmp_lt_i32_e64 s9, v26, v15
	s_or_b32 s7, s7, s8
	s_delay_alu instid0(SALU_CYCLE_1) | instskip(NEXT) | instid1(SALU_CYCLE_1)
	s_and_b32 s7, s9, s7
	s_xor_b32 s8, s7, -1
	s_delay_alu instid0(SALU_CYCLE_1) | instskip(NEXT) | instid1(SALU_CYCLE_1)
	s_and_saveexec_b32 s9, s8
	s_xor_b32 s8, exec_lo, s9
; %bb.157:
	v_lshl_add_u32 v20, v25, 2, v6
	ds_load_b32 v20, v20 offset:4
; %bb.158:
	s_or_saveexec_b32 s8, s8
	v_mov_b32_e32 v22, v18
	s_xor_b32 exec_lo, exec_lo, s8
	s_cbranch_execz .LBB11_160
; %bb.159:
	s_wait_dscnt 0x0
	v_lshl_add_u32 v20, v26, 2, v6
	ds_load_b32 v22, v20 offset:4
	v_mov_b32_e32 v20, v17
.LBB11_160:
	s_or_b32 exec_lo, exec_lo, s8
	v_dual_add_nc_u32 v23, 1, v25 :: v_dual_add_nc_u32 v24, 1, v26
	s_wait_dscnt 0x0
	s_delay_alu instid0(VALU_DEP_2) | instskip(NEXT) | instid1(VALU_DEP_2)
	v_cmp_gt_i32_e64 s9, v22, v20
	v_dual_cndmask_b32 v29, v23, v25, s7 :: v_dual_cndmask_b32 v30, v26, v24, s7
                                        ; implicit-def: $vgpr23
	s_delay_alu instid0(VALU_DEP_1) | instskip(NEXT) | instid1(VALU_DEP_2)
	v_cmp_ge_i32_e64 s8, v29, v3
	v_cmp_lt_i32_e64 s10, v30, v15
	s_or_b32 s8, s8, s9
	s_delay_alu instid0(SALU_CYCLE_1) | instskip(NEXT) | instid1(SALU_CYCLE_1)
	s_and_b32 s8, s10, s8
	s_xor_b32 s9, s8, -1
	s_delay_alu instid0(SALU_CYCLE_1) | instskip(NEXT) | instid1(SALU_CYCLE_1)
	s_and_saveexec_b32 s10, s9
	s_xor_b32 s9, exec_lo, s10
; %bb.161:
	v_lshl_add_u32 v23, v29, 2, v6
	ds_load_b32 v23, v23 offset:4
; %bb.162:
	s_or_saveexec_b32 s9, s9
	v_mov_b32_e32 v24, v22
	s_xor_b32 exec_lo, exec_lo, s9
	s_cbranch_execz .LBB11_164
; %bb.163:
	s_wait_dscnt 0x0
	v_lshl_add_u32 v23, v30, 2, v6
	ds_load_b32 v24, v23 offset:4
	v_mov_b32_e32 v23, v20
.LBB11_164:
	s_or_b32 exec_lo, exec_lo, s9
	v_dual_add_nc_u32 v27, 1, v29 :: v_dual_add_nc_u32 v28, 1, v30
	s_wait_dscnt 0x0
	s_delay_alu instid0(VALU_DEP_2) | instskip(NEXT) | instid1(VALU_DEP_2)
	v_cmp_gt_i32_e64 s10, v24, v23
	v_dual_cndmask_b32 v33, v27, v29, s8 :: v_dual_cndmask_b32 v35, v30, v28, s8
                                        ; implicit-def: $vgpr27
	s_delay_alu instid0(VALU_DEP_1) | instskip(NEXT) | instid1(VALU_DEP_2)
	v_cmp_ge_i32_e64 s9, v33, v3
	v_cmp_lt_i32_e64 s11, v35, v15
	s_or_b32 s9, s9, s10
	s_delay_alu instid0(SALU_CYCLE_1) | instskip(NEXT) | instid1(SALU_CYCLE_1)
	s_and_b32 s9, s11, s9
	s_xor_b32 s10, s9, -1
	s_delay_alu instid0(SALU_CYCLE_1) | instskip(NEXT) | instid1(SALU_CYCLE_1)
	s_and_saveexec_b32 s11, s10
	s_xor_b32 s10, exec_lo, s11
; %bb.165:
	v_lshl_add_u32 v27, v33, 2, v6
	ds_load_b32 v27, v27 offset:4
; %bb.166:
	s_or_saveexec_b32 s10, s10
	v_mov_b32_e32 v28, v24
	s_xor_b32 exec_lo, exec_lo, s10
	s_cbranch_execz .LBB11_168
; %bb.167:
	s_wait_dscnt 0x0
	v_lshl_add_u32 v27, v35, 2, v6
	ds_load_b32 v28, v27 offset:4
	v_mov_b32_e32 v27, v23
.LBB11_168:
	s_or_b32 exec_lo, exec_lo, s10
	v_dual_add_nc_u32 v31, 1, v33 :: v_dual_add_nc_u32 v32, 1, v35
	s_wait_dscnt 0x0
	s_delay_alu instid0(VALU_DEP_2) | instskip(NEXT) | instid1(VALU_DEP_2)
	v_cmp_gt_i32_e64 s11, v28, v27
	v_cndmask_b32_e64 v37, v31, v33, s9
	s_delay_alu instid0(VALU_DEP_3) | instskip(NEXT) | instid1(VALU_DEP_2)
	v_cndmask_b32_e64 v38, v35, v32, s9
                                        ; implicit-def: $vgpr31
	v_cmp_ge_i32_e64 s10, v37, v3
	s_delay_alu instid0(VALU_DEP_2) | instskip(SKIP_1) | instid1(SALU_CYCLE_1)
	v_cmp_lt_i32_e64 s12, v38, v15
	s_or_b32 s10, s10, s11
	s_and_b32 s10, s12, s10
	s_delay_alu instid0(SALU_CYCLE_1) | instskip(NEXT) | instid1(SALU_CYCLE_1)
	s_xor_b32 s11, s10, -1
	s_and_saveexec_b32 s12, s11
	s_delay_alu instid0(SALU_CYCLE_1)
	s_xor_b32 s11, exec_lo, s12
; %bb.169:
	v_lshl_add_u32 v31, v37, 2, v6
	ds_load_b32 v31, v31 offset:4
; %bb.170:
	s_or_saveexec_b32 s11, s11
	v_mov_b32_e32 v32, v28
	s_xor_b32 exec_lo, exec_lo, s11
	s_cbranch_execz .LBB11_172
; %bb.171:
	s_wait_dscnt 0x0
	v_lshl_add_u32 v31, v38, 2, v6
	ds_load_b32 v32, v31 offset:4
	v_mov_b32_e32 v31, v27
.LBB11_172:
	s_or_b32 exec_lo, exec_lo, s11
	v_dual_add_nc_u32 v34, 1, v37 :: v_dual_add_nc_u32 v36, 1, v38
	s_wait_dscnt 0x0
	s_delay_alu instid0(VALU_DEP_2) | instskip(NEXT) | instid1(VALU_DEP_2)
	v_cmp_gt_i32_e64 s12, v32, v31
                                        ; implicit-def: $vgpr41
	v_cndmask_b32_e64 v42, v34, v37, s10
	s_delay_alu instid0(VALU_DEP_3) | instskip(NEXT) | instid1(VALU_DEP_2)
	v_cndmask_b32_e64 v39, v38, v36, s10
                                        ; implicit-def: $vgpr34
	v_cmp_ge_i32_e64 s11, v42, v3
	s_delay_alu instid0(VALU_DEP_2) | instskip(SKIP_1) | instid1(SALU_CYCLE_1)
	v_cmp_lt_i32_e64 s13, v39, v15
	s_or_b32 s11, s11, s12
	s_and_b32 s11, s13, s11
	s_delay_alu instid0(SALU_CYCLE_1) | instskip(NEXT) | instid1(SALU_CYCLE_1)
	s_xor_b32 s12, s11, -1
	s_and_saveexec_b32 s13, s12
	s_delay_alu instid0(SALU_CYCLE_1)
	s_xor_b32 s12, exec_lo, s13
; %bb.173:
	v_lshl_add_u32 v34, v42, 2, v6
	v_add_nc_u32_e32 v41, 1, v42
	ds_load_b32 v34, v34 offset:4
; %bb.174:
	s_or_saveexec_b32 s12, s12
	v_dual_mov_b32 v40, v42 :: v_dual_mov_b32 v36, v32
	s_xor_b32 exec_lo, exec_lo, s12
	s_cbranch_execz .LBB11_176
; %bb.175:
	s_wait_dscnt 0x0
	v_lshl_add_u32 v34, v39, 2, v6
	v_mov_b32_e32 v40, v39
	ds_load_b32 v36, v34 offset:4
	v_dual_mov_b32 v41, v42 :: v_dual_add_nc_u32 v34, 1, v39
	s_delay_alu instid0(VALU_DEP_1)
	v_dual_mov_b32 v39, v34 :: v_dual_mov_b32 v34, v31
.LBB11_176:
	s_or_b32 exec_lo, exec_lo, s12
	s_delay_alu instid0(VALU_DEP_2) | instskip(SKIP_1) | instid1(VALU_DEP_2)
	v_cmp_ge_i32_e64 s12, v41, v3
	s_wait_dscnt 0x0
	v_cmp_gt_i32_e64 s13, v36, v34
	v_cmp_lt_i32_e64 s14, v39, v15
	v_cndmask_b32_e64 v19, v21, v19, s6
	v_cndmask_b32_e64 v25, v25, v26, s7
	;; [unrolled: 1-line block ×3, first 2 shown]
	s_or_b32 s12, s12, s13
	v_cndmask_b32_e64 v3, v33, v35, s9
	s_and_b32 s12, s14, s12
	v_cndmask_b32_e64 v37, v37, v38, s10
	v_cndmask_b32_e64 v21, v41, v39, s12
	; wave barrier
	ds_store_2addr_b32 v12, v0, v1 offset1:1
	ds_store_2addr_b32 v12, v2, v4 offset0:2 offset1:3
	ds_store_2addr_b32 v12, v5, v7 offset0:4 offset1:5
	ds_store_b32 v12, v13 offset:24
	v_lshl_add_u32 v0, v19, 2, v6
	v_lshl_add_u32 v1, v25, 2, v6
	;; [unrolled: 1-line block ×5, first 2 shown]
	; wave barrier
	v_lshl_add_u32 v12, v40, 2, v6
	v_lshl_add_u32 v13, v21, 2, v6
	ds_load_b32 v6, v0
	ds_load_b32 v5, v1
	;; [unrolled: 1-line block ×7, first 2 shown]
	s_and_saveexec_b32 s13, vcc_lo
	s_cbranch_execnz .LBB11_191
; %bb.177:
	s_or_b32 exec_lo, exec_lo, s13
	s_and_saveexec_b32 s6, s0
	s_cbranch_execnz .LBB11_192
.LBB11_178:
	s_or_b32 exec_lo, exec_lo, s6
	s_and_saveexec_b32 s6, s1
	s_cbranch_execnz .LBB11_193
.LBB11_179:
	s_or_b32 exec_lo, exec_lo, s6
	s_and_saveexec_b32 s6, s2
	s_cbranch_execnz .LBB11_194
.LBB11_180:
	s_or_b32 exec_lo, exec_lo, s6
	s_and_saveexec_b32 s6, s3
	s_cbranch_execnz .LBB11_195
.LBB11_181:
	s_or_b32 exec_lo, exec_lo, s6
	s_and_saveexec_b32 s6, s4
	s_cbranch_execnz .LBB11_196
.LBB11_182:
	s_or_b32 exec_lo, exec_lo, s6
	s_and_saveexec_b32 s6, s5
	s_cbranch_execnz .LBB11_197
.LBB11_183:
	s_or_b32 exec_lo, exec_lo, s6
	s_and_saveexec_b32 s6, vcc_lo
	s_cbranch_execnz .LBB11_198
.LBB11_184:
	s_or_b32 exec_lo, exec_lo, s6
	s_and_saveexec_b32 s6, s0
	s_cbranch_execnz .LBB11_199
.LBB11_185:
	s_or_b32 exec_lo, exec_lo, s6
	s_and_saveexec_b32 s0, s1
	s_cbranch_execnz .LBB11_200
.LBB11_186:
	s_or_b32 exec_lo, exec_lo, s0
	s_and_saveexec_b32 s0, s2
	s_cbranch_execnz .LBB11_201
.LBB11_187:
	s_or_b32 exec_lo, exec_lo, s0
	s_and_saveexec_b32 s0, s3
	s_cbranch_execnz .LBB11_202
.LBB11_188:
	s_or_b32 exec_lo, exec_lo, s0
	s_and_saveexec_b32 s0, s4
	s_cbranch_execnz .LBB11_203
.LBB11_189:
	s_or_b32 exec_lo, exec_lo, s0
	s_and_saveexec_b32 s0, s5
	s_cbranch_execnz .LBB11_204
.LBB11_190:
	s_endpgm
.LBB11_191:
	v_cndmask_b32_e64 v7, v14, v16, s6
	global_store_b32 v[8:9], v7, off
	s_wait_xcnt 0x0
	s_or_b32 exec_lo, exec_lo, s13
	s_and_saveexec_b32 s6, s0
	s_cbranch_execz .LBB11_178
.LBB11_192:
	v_cndmask_b32_e64 v7, v17, v18, s7
	global_store_b32 v[8:9], v7, off offset:4
	s_wait_xcnt 0x0
	s_or_b32 exec_lo, exec_lo, s6
	s_and_saveexec_b32 s6, s1
	s_cbranch_execz .LBB11_179
.LBB11_193:
	v_cndmask_b32_e64 v7, v20, v22, s8
	global_store_b32 v[8:9], v7, off offset:8
	s_wait_xcnt 0x0
	s_or_b32 exec_lo, exec_lo, s6
	s_and_saveexec_b32 s6, s2
	s_cbranch_execz .LBB11_180
.LBB11_194:
	v_cndmask_b32_e64 v7, v23, v24, s9
	global_store_b32 v[8:9], v7, off offset:12
	s_wait_xcnt 0x0
	s_or_b32 exec_lo, exec_lo, s6
	s_and_saveexec_b32 s6, s3
	s_cbranch_execz .LBB11_181
.LBB11_195:
	v_cndmask_b32_e64 v7, v27, v28, s10
	global_store_b32 v[8:9], v7, off offset:16
	s_wait_xcnt 0x0
	s_or_b32 exec_lo, exec_lo, s6
	s_and_saveexec_b32 s6, s4
	s_cbranch_execz .LBB11_182
.LBB11_196:
	v_cndmask_b32_e64 v7, v31, v32, s11
	global_store_b32 v[8:9], v7, off offset:20
	s_wait_xcnt 0x0
	s_or_b32 exec_lo, exec_lo, s6
	s_and_saveexec_b32 s6, s5
	s_cbranch_execz .LBB11_183
.LBB11_197:
	v_cndmask_b32_e64 v7, v34, v36, s12
	global_store_b32 v[8:9], v7, off offset:24
	s_wait_xcnt 0x0
	s_or_b32 exec_lo, exec_lo, s6
	s_and_saveexec_b32 s6, vcc_lo
	s_cbranch_execz .LBB11_184
.LBB11_198:
	s_wait_dscnt 0x6
	global_store_b32 v[10:11], v6, off
	s_wait_xcnt 0x0
	s_or_b32 exec_lo, exec_lo, s6
	s_and_saveexec_b32 s6, s0
	s_cbranch_execz .LBB11_185
.LBB11_199:
	s_wait_dscnt 0x5
	global_store_b32 v[10:11], v5, off offset:4
	s_wait_xcnt 0x0
	s_or_b32 exec_lo, exec_lo, s6
	s_and_saveexec_b32 s0, s1
	s_cbranch_execz .LBB11_186
.LBB11_200:
	s_wait_dscnt 0x4
	global_store_b32 v[10:11], v4, off offset:8
	s_wait_xcnt 0x0
	s_or_b32 exec_lo, exec_lo, s0
	s_and_saveexec_b32 s0, s2
	s_cbranch_execz .LBB11_187
.LBB11_201:
	s_wait_dscnt 0x3
	global_store_b32 v[10:11], v3, off offset:12
	s_wait_xcnt 0x0
	s_or_b32 exec_lo, exec_lo, s0
	s_and_saveexec_b32 s0, s3
	s_cbranch_execz .LBB11_188
.LBB11_202:
	s_wait_dscnt 0x2
	global_store_b32 v[10:11], v2, off offset:16
	s_wait_xcnt 0x0
	s_or_b32 exec_lo, exec_lo, s0
	s_and_saveexec_b32 s0, s4
	s_cbranch_execz .LBB11_189
.LBB11_203:
	s_wait_dscnt 0x1
	global_store_b32 v[10:11], v1, off offset:20
	s_wait_xcnt 0x0
	s_or_b32 exec_lo, exec_lo, s0
	s_and_saveexec_b32 s0, s5
	s_cbranch_execz .LBB11_190
.LBB11_204:
	s_wait_dscnt 0x0
	global_store_b32 v[10:11], v0, off offset:24
	s_endpgm
	.section	.rodata,"a",@progbits
	.p2align	6, 0x0
	.amdhsa_kernel _Z26sort_keys_values_segmentedILj256ELj32ELj7ELb0EiN10test_utils16custom_test_typeIsEENS0_7greaterEEvPT3_PT4_PKjT5_
		.amdhsa_group_segment_fixed_size 7200
		.amdhsa_private_segment_fixed_size 0
		.amdhsa_kernarg_size 28
		.amdhsa_user_sgpr_count 2
		.amdhsa_user_sgpr_dispatch_ptr 0
		.amdhsa_user_sgpr_queue_ptr 0
		.amdhsa_user_sgpr_kernarg_segment_ptr 1
		.amdhsa_user_sgpr_dispatch_id 0
		.amdhsa_user_sgpr_kernarg_preload_length 0
		.amdhsa_user_sgpr_kernarg_preload_offset 0
		.amdhsa_user_sgpr_private_segment_size 0
		.amdhsa_wavefront_size32 1
		.amdhsa_uses_dynamic_stack 0
		.amdhsa_enable_private_segment 0
		.amdhsa_system_sgpr_workgroup_id_x 1
		.amdhsa_system_sgpr_workgroup_id_y 0
		.amdhsa_system_sgpr_workgroup_id_z 0
		.amdhsa_system_sgpr_workgroup_info 0
		.amdhsa_system_vgpr_workitem_id 0
		.amdhsa_next_free_vgpr 46
		.amdhsa_next_free_sgpr 15
		.amdhsa_named_barrier_count 0
		.amdhsa_reserve_vcc 1
		.amdhsa_float_round_mode_32 0
		.amdhsa_float_round_mode_16_64 0
		.amdhsa_float_denorm_mode_32 3
		.amdhsa_float_denorm_mode_16_64 3
		.amdhsa_fp16_overflow 0
		.amdhsa_memory_ordered 1
		.amdhsa_forward_progress 1
		.amdhsa_inst_pref_size 78
		.amdhsa_round_robin_scheduling 0
		.amdhsa_exception_fp_ieee_invalid_op 0
		.amdhsa_exception_fp_denorm_src 0
		.amdhsa_exception_fp_ieee_div_zero 0
		.amdhsa_exception_fp_ieee_overflow 0
		.amdhsa_exception_fp_ieee_underflow 0
		.amdhsa_exception_fp_ieee_inexact 0
		.amdhsa_exception_int_div_zero 0
	.end_amdhsa_kernel
	.section	.text._Z26sort_keys_values_segmentedILj256ELj32ELj7ELb0EiN10test_utils16custom_test_typeIsEENS0_7greaterEEvPT3_PT4_PKjT5_,"axG",@progbits,_Z26sort_keys_values_segmentedILj256ELj32ELj7ELb0EiN10test_utils16custom_test_typeIsEENS0_7greaterEEvPT3_PT4_PKjT5_,comdat
.Lfunc_end11:
	.size	_Z26sort_keys_values_segmentedILj256ELj32ELj7ELb0EiN10test_utils16custom_test_typeIsEENS0_7greaterEEvPT3_PT4_PKjT5_, .Lfunc_end11-_Z26sort_keys_values_segmentedILj256ELj32ELj7ELb0EiN10test_utils16custom_test_typeIsEENS0_7greaterEEvPT3_PT4_PKjT5_
                                        ; -- End function
	.set _Z26sort_keys_values_segmentedILj256ELj32ELj7ELb0EiN10test_utils16custom_test_typeIsEENS0_7greaterEEvPT3_PT4_PKjT5_.num_vgpr, 46
	.set _Z26sort_keys_values_segmentedILj256ELj32ELj7ELb0EiN10test_utils16custom_test_typeIsEENS0_7greaterEEvPT3_PT4_PKjT5_.num_agpr, 0
	.set _Z26sort_keys_values_segmentedILj256ELj32ELj7ELb0EiN10test_utils16custom_test_typeIsEENS0_7greaterEEvPT3_PT4_PKjT5_.numbered_sgpr, 15
	.set _Z26sort_keys_values_segmentedILj256ELj32ELj7ELb0EiN10test_utils16custom_test_typeIsEENS0_7greaterEEvPT3_PT4_PKjT5_.num_named_barrier, 0
	.set _Z26sort_keys_values_segmentedILj256ELj32ELj7ELb0EiN10test_utils16custom_test_typeIsEENS0_7greaterEEvPT3_PT4_PKjT5_.private_seg_size, 0
	.set _Z26sort_keys_values_segmentedILj256ELj32ELj7ELb0EiN10test_utils16custom_test_typeIsEENS0_7greaterEEvPT3_PT4_PKjT5_.uses_vcc, 1
	.set _Z26sort_keys_values_segmentedILj256ELj32ELj7ELb0EiN10test_utils16custom_test_typeIsEENS0_7greaterEEvPT3_PT4_PKjT5_.uses_flat_scratch, 0
	.set _Z26sort_keys_values_segmentedILj256ELj32ELj7ELb0EiN10test_utils16custom_test_typeIsEENS0_7greaterEEvPT3_PT4_PKjT5_.has_dyn_sized_stack, 0
	.set _Z26sort_keys_values_segmentedILj256ELj32ELj7ELb0EiN10test_utils16custom_test_typeIsEENS0_7greaterEEvPT3_PT4_PKjT5_.has_recursion, 0
	.set _Z26sort_keys_values_segmentedILj256ELj32ELj7ELb0EiN10test_utils16custom_test_typeIsEENS0_7greaterEEvPT3_PT4_PKjT5_.has_indirect_call, 0
	.section	.AMDGPU.csdata,"",@progbits
; Kernel info:
; codeLenInByte = 9888
; TotalNumSgprs: 17
; NumVgprs: 46
; ScratchSize: 0
; MemoryBound: 0
; FloatMode: 240
; IeeeMode: 1
; LDSByteSize: 7200 bytes/workgroup (compile time only)
; SGPRBlocks: 0
; VGPRBlocks: 2
; NumSGPRsForWavesPerEU: 17
; NumVGPRsForWavesPerEU: 46
; NamedBarCnt: 0
; Occupancy: 16
; WaveLimiterHint : 0
; COMPUTE_PGM_RSRC2:SCRATCH_EN: 0
; COMPUTE_PGM_RSRC2:USER_SGPR: 2
; COMPUTE_PGM_RSRC2:TRAP_HANDLER: 0
; COMPUTE_PGM_RSRC2:TGID_X_EN: 1
; COMPUTE_PGM_RSRC2:TGID_Y_EN: 0
; COMPUTE_PGM_RSRC2:TGID_Z_EN: 0
; COMPUTE_PGM_RSRC2:TIDIG_COMP_CNT: 0
	.section	.text._Z26sort_keys_values_segmentedILj256ELj8ELj4ELb1ExsN10test_utils4lessEEvPT3_PT4_PKjT5_,"axG",@progbits,_Z26sort_keys_values_segmentedILj256ELj8ELj4ELb1ExsN10test_utils4lessEEvPT3_PT4_PKjT5_,comdat
	.protected	_Z26sort_keys_values_segmentedILj256ELj8ELj4ELb1ExsN10test_utils4lessEEvPT3_PT4_PKjT5_ ; -- Begin function _Z26sort_keys_values_segmentedILj256ELj8ELj4ELb1ExsN10test_utils4lessEEvPT3_PT4_PKjT5_
	.globl	_Z26sort_keys_values_segmentedILj256ELj8ELj4ELb1ExsN10test_utils4lessEEvPT3_PT4_PKjT5_
	.p2align	8
	.type	_Z26sort_keys_values_segmentedILj256ELj8ELj4ELb1ExsN10test_utils4lessEEvPT3_PT4_PKjT5_,@function
_Z26sort_keys_values_segmentedILj256ELj8ELj4ELb1ExsN10test_utils4lessEEvPT3_PT4_PKjT5_: ; @_Z26sort_keys_values_segmentedILj256ELj8ELj4ELb1ExsN10test_utils4lessEEvPT3_PT4_PKjT5_
; %bb.0:
	s_load_b64 s[2:3], s[0:1], 0x10
	s_bfe_u32 s4, ttmp6, 0x4000c
	s_and_b32 s5, ttmp6, 15
	s_add_co_i32 s4, s4, 1
	s_getreg_b32 s6, hwreg(HW_REG_IB_STS2, 6, 4)
	s_mul_i32 s4, ttmp9, s4
	v_mbcnt_lo_u32_b32 v1, -1, 0
	v_lshrrev_b32_e32 v20, 3, v0
	s_add_co_i32 s5, s5, s4
	s_cmp_eq_u32 s6, 0
                                        ; implicit-def: $vgpr8_vgpr9
	v_mov_b32_e32 v3, 0
	s_cselect_b32 s4, ttmp9, s5
	v_lshlrev_b32_e32 v26, 2, v1
	v_lshl_or_b32 v0, s4, 5, v20
	s_load_b128 s[4:7], s[0:1], 0x0
	s_delay_alu instid0(VALU_DEP_2) | instskip(NEXT) | instid1(VALU_DEP_2)
	v_dual_mov_b32 v7, v3 :: v_dual_bitop2_b32 v23, 28, v26 bitop3:0x40
	v_lshlrev_b32_e32 v2, 5, v0
	s_wait_kmcnt 0x0
	global_load_b32 v22, v0, s[2:3] scale_offset
	v_lshlrev_b32_e32 v6, 3, v23
	s_wait_xcnt 0x0
	v_lshl_add_u64 v[0:1], v[2:3], 3, s[4:5]
	s_delay_alu instid0(VALU_DEP_1)
	v_add_nc_u64_e32 v[0:1], v[0:1], v[6:7]
	s_wait_loadcnt 0x0
	v_cmp_lt_u32_e32 vcc_lo, v23, v22
	s_and_saveexec_b32 s0, vcc_lo
	s_cbranch_execz .LBB12_2
; %bb.1:
	global_load_b64 v[8:9], v[0:1], off
.LBB12_2:
	s_wait_xcnt 0x0
	s_or_b32 exec_lo, exec_lo, s0
	v_or_b32_e32 v7, 1, v23
                                        ; implicit-def: $vgpr10_vgpr11
	s_delay_alu instid0(VALU_DEP_1)
	v_cmp_lt_u32_e64 s0, v7, v22
	s_and_saveexec_b32 s1, s0
	s_cbranch_execz .LBB12_4
; %bb.3:
	global_load_b64 v[10:11], v[0:1], off offset:8
.LBB12_4:
	s_wait_xcnt 0x0
	s_or_b32 exec_lo, exec_lo, s1
	v_or_b32_e32 v12, 2, v23
                                        ; implicit-def: $vgpr14_vgpr15
	s_delay_alu instid0(VALU_DEP_1)
	v_cmp_lt_u32_e64 s1, v12, v22
	s_and_saveexec_b32 s2, s1
	s_cbranch_execz .LBB12_6
; %bb.5:
	global_load_b64 v[14:15], v[0:1], off offset:16
.LBB12_6:
	s_wait_xcnt 0x0
	s_or_b32 exec_lo, exec_lo, s2
	v_or_b32_e32 v18, 3, v23
                                        ; implicit-def: $vgpr16_vgpr17
	s_delay_alu instid0(VALU_DEP_1)
	v_cmp_lt_u32_e64 s2, v18, v22
	s_and_saveexec_b32 s3, s2
	s_cbranch_execz .LBB12_8
; %bb.7:
	global_load_b64 v[16:17], v[0:1], off offset:24
.LBB12_8:
	s_wait_xcnt 0x0
	s_or_b32 exec_lo, exec_lo, s3
	v_lshl_add_u64 v[2:3], v[2:3], 1, s[6:7]
	v_dual_mov_b32 v5, 0 :: v_dual_lshlrev_b32 v4, 1, v23
	s_delay_alu instid0(VALU_DEP_1)
	v_add_nc_u64_e32 v[2:3], v[2:3], v[4:5]
	v_mov_b32_e32 v4, v5
	s_and_saveexec_b32 s3, vcc_lo
	s_cbranch_execnz .LBB12_74
; %bb.9:
	s_or_b32 exec_lo, exec_lo, s3
	s_and_saveexec_b32 s3, s0
	s_cbranch_execnz .LBB12_75
.LBB12_10:
	s_or_b32 exec_lo, exec_lo, s3
	s_and_saveexec_b32 s3, s1
	s_cbranch_execnz .LBB12_76
.LBB12_11:
	s_or_b32 exec_lo, exec_lo, s3
	s_and_saveexec_b32 s3, s2
	s_cbranch_execz .LBB12_13
.LBB12_12:
	global_load_u16 v13, v[2:3], off offset:6
	s_wait_loadcnt 0x0
	v_perm_b32 v5, v13, v5, 0x5040100
.LBB12_13:
	s_or_b32 exec_lo, exec_lo, s3
	v_cmp_lt_i32_e64 s3, v7, v22
	v_cmp_lt_i32_e64 s4, v12, v22
	;; [unrolled: 1-line block ×3, first 2 shown]
	s_wait_loadcnt 0x0
	s_delay_alu instid0(VALU_DEP_3) | instskip(NEXT) | instid1(VALU_DEP_3)
	v_cndmask_b32_e64 v13, 0x7fffffff, v11, s3
	v_cndmask_b32_e64 v11, 0x7fffffff, v15, s4
	v_cndmask_b32_e64 v12, -1, v10, s3
	v_cndmask_b32_e64 v10, -1, v14, s4
	v_cndmask_b32_e64 v15, 0x7fffffff, v17, s5
	v_cndmask_b32_e64 v14, -1, v16, s5
	s_mov_b32 s5, exec_lo
	v_cmpx_lt_i32_e64 v23, v22
	s_cbranch_execz .LBB12_17
; %bb.14:
	v_max_i64 v[24:25], v[12:13], v[8:9]
	v_min_i64 v[28:29], v[14:15], v[10:11]
	v_max_i64 v[16:17], v[14:15], v[10:11]
	v_min_i64 v[30:31], v[12:13], v[8:9]
	v_cmp_lt_i64_e64 s3, v[14:15], v[10:11]
	v_cmp_lt_i64_e64 s4, v[12:13], v[8:9]
	v_alignbit_b32 v7, v5, v5, 16
	v_alignbit_b32 v14, v4, v4, 16
	s_delay_alu instid0(VALU_DEP_1) | instskip(NEXT) | instid1(VALU_DEP_1)
	v_dual_cndmask_b32 v5, v5, v7, s3 :: v_dual_cndmask_b32 v4, v4, v14, s4
	v_perm_b32 v7, v5, v4, 0x7060302
	v_perm_b32 v8, v5, v4, 0x5040100
	v_max_i64 v[18:19], v[28:29], v[24:25]
	v_min_i64 v[32:33], v[28:29], v[24:25]
	v_cmp_lt_i64_e64 s3, v[28:29], v[24:25]
	v_cmp_lt_i64_e64 s4, v[28:29], v[30:31]
	s_delay_alu instid0(VALU_DEP_2) | instskip(NEXT) | instid1(VALU_DEP_1)
	v_dual_cndmask_b32 v5, v5, v7, s3 :: v_dual_cndmask_b32 v4, v4, v8, s3
	v_alignbit_b32 v12, v5, v5, 16
	s_delay_alu instid0(VALU_DEP_2) | instskip(NEXT) | instid1(VALU_DEP_1)
	v_alignbit_b32 v7, v4, v4, 16
	v_cndmask_b32_e64 v4, v4, v7, s4
	v_min_i64 v[10:11], v[16:17], v[18:19]
	v_dual_cndmask_b32 v9, v31, v33, s4 :: v_dual_cndmask_b32 v15, v33, v31, s4
	v_dual_cndmask_b32 v14, v32, v30, s4 :: v_dual_cndmask_b32 v8, v30, v32, s4
	v_cmp_gt_i64_e64 s4, v[24:25], v[16:17]
	s_delay_alu instid0(VALU_DEP_1) | instskip(NEXT) | instid1(VALU_DEP_3)
	v_cndmask_b32_e64 v5, v5, v12, s4
	v_mov_b64_e32 v[12:13], v[14:15]
	s_mov_b32 s4, exec_lo
	v_cmpx_lt_i64_e64 v[10:11], v[14:15]
; %bb.15:
	s_delay_alu instid0(VALU_DEP_3) | instskip(SKIP_3) | instid1(VALU_DEP_3)
	v_perm_b32 v25, v5, v4, 0x7060302
	v_perm_b32 v24, v5, v4, 0x5040100
	v_mov_b64_e32 v[12:13], v[10:11]
	v_mov_b64_e32 v[10:11], v[14:15]
	;; [unrolled: 1-line block ×3, first 2 shown]
; %bb.16:
	s_or_b32 exec_lo, exec_lo, s4
	v_max_i64 v[14:15], v[16:17], v[18:19]
.LBB12_17:
	s_or_b32 exec_lo, exec_lo, s5
	v_and_b32_e32 v7, 24, v26
	v_mul_u32_u24_e32 v24, 0x108, v20
	v_mad_u32_u24 v25, 0x108, v20, v6
	s_mov_b32 s5, 0
	s_mov_b32 s4, exec_lo
	v_min_i32_e32 v16, v22, v7
	; wave barrier
	ds_store_2addr_b64 v25, v[8:9], v[12:13] offset1:1
	ds_store_2addr_b64 v25, v[10:11], v[14:15] offset0:2 offset1:3
	v_add_min_i32_e64 v28, v16, 4, v22
	v_and_b32_e32 v7, 4, v26
	; wave barrier
	s_delay_alu instid0(VALU_DEP_2) | instskip(NEXT) | instid1(VALU_DEP_1)
	v_add_min_i32_e64 v27, v28, 4, v22
	v_dual_sub_nc_u32 v17, v27, v28 :: v_dual_min_i32 v7, v22, v7
	s_delay_alu instid0(VALU_DEP_1) | instskip(SKIP_2) | instid1(VALU_DEP_3)
	v_dual_sub_nc_u32 v19, v7, v17 :: v_dual_sub_nc_u32 v18, v28, v16
	v_lshlrev_b32_e32 v21, 3, v16
	v_cmp_ge_i32_e64 s3, v7, v17
	v_min_i32_e32 v18, v7, v18
	s_delay_alu instid0(VALU_DEP_3) | instskip(NEXT) | instid1(VALU_DEP_3)
	v_mad_u32_u24 v6, 0x108, v20, v21
	v_cndmask_b32_e64 v17, 0, v19, s3
	s_delay_alu instid0(VALU_DEP_1)
	v_cmpx_lt_i32_e64 v17, v18
	s_cbranch_execz .LBB12_21
; %bb.18:
	v_dual_lshlrev_b32 v8, 3, v28 :: v_dual_lshlrev_b32 v9, 3, v7
	s_delay_alu instid0(VALU_DEP_1)
	v_add3_u32 v8, v24, v8, v9
.LBB12_19:                              ; =>This Inner Loop Header: Depth=1
	v_sub_nc_u32_e32 v9, v18, v17
	s_delay_alu instid0(VALU_DEP_1) | instskip(NEXT) | instid1(VALU_DEP_1)
	v_lshrrev_b32_e32 v9, 1, v9
	v_add_nc_u32_e32 v9, v9, v17
	s_delay_alu instid0(VALU_DEP_1) | instskip(SKIP_1) | instid1(VALU_DEP_2)
	v_not_b32_e32 v10, v9
	v_lshl_add_u32 v11, v9, 3, v6
	v_lshl_add_u32 v12, v10, 3, v8
	ds_load_b64 v[10:11], v11
	ds_load_b64 v[12:13], v12
	s_wait_dscnt 0x0
	v_cmp_lt_i64_e64 s3, v[12:13], v[10:11]
	v_add_nc_u32_e32 v10, 1, v9
	s_delay_alu instid0(VALU_DEP_1) | instskip(SKIP_1) | instid1(VALU_DEP_1)
	v_cndmask_b32_e64 v17, v10, v17, s3
	v_cndmask_b32_e64 v18, v18, v9, s3
	v_cmp_ge_i32_e64 s3, v17, v18
	s_or_b32 s5, s3, s5
	s_delay_alu instid0(SALU_CYCLE_1)
	s_and_not1_b32 exec_lo, exec_lo, s5
	s_cbranch_execnz .LBB12_19
; %bb.20:
	s_or_b32 exec_lo, exec_lo, s5
.LBB12_21:
	s_delay_alu instid0(SALU_CYCLE_1) | instskip(SKIP_2) | instid1(VALU_DEP_2)
	s_or_b32 exec_lo, exec_lo, s4
	v_dual_add_nc_u32 v7, v28, v7 :: v_dual_add_nc_u32 v30, v17, v16
	v_lshl_add_u32 v12, v17, 3, v6
                                        ; implicit-def: $vgpr10_vgpr11
	v_sub_nc_u32_e32 v29, v7, v17
	s_delay_alu instid0(VALU_DEP_3) | instskip(NEXT) | instid1(VALU_DEP_2)
	v_cmp_le_i32_e64 s4, v28, v30
	v_lshl_add_u32 v14, v29, 3, v24
	v_cmp_gt_i32_e64 s5, v27, v29
	ds_load_b64 v[6:7], v12
	ds_load_b64 v[8:9], v14
	s_wait_dscnt 0x0
	v_cmp_lt_i64_e64 s3, v[8:9], v[6:7]
	s_or_b32 s3, s4, s3
	s_delay_alu instid0(SALU_CYCLE_1) | instskip(NEXT) | instid1(SALU_CYCLE_1)
	s_and_b32 s3, s5, s3
	s_xor_b32 s4, s3, -1
	s_delay_alu instid0(SALU_CYCLE_1) | instskip(NEXT) | instid1(SALU_CYCLE_1)
	s_and_saveexec_b32 s5, s4
	s_xor_b32 s4, exec_lo, s5
; %bb.22:
	ds_load_b64 v[10:11], v12 offset:8
                                        ; implicit-def: $vgpr14
; %bb.23:
	s_or_saveexec_b32 s4, s4
	v_mov_b64_e32 v[12:13], v[8:9]
	s_xor_b32 exec_lo, exec_lo, s4
	s_cbranch_execz .LBB12_25
; %bb.24:
	ds_load_b64 v[12:13], v14 offset:8
	s_wait_dscnt 0x1
	v_mov_b64_e32 v[10:11], v[6:7]
.LBB12_25:
	s_or_b32 exec_lo, exec_lo, s4
	v_dual_add_nc_u32 v14, 1, v30 :: v_dual_add_nc_u32 v15, 1, v29
	s_wait_dscnt 0x0
	s_delay_alu instid0(VALU_DEP_2) | instskip(NEXT) | instid1(VALU_DEP_2)
	v_cmp_lt_i64_e64 s4, v[12:13], v[10:11]
                                        ; implicit-def: $vgpr18_vgpr19
	v_dual_cndmask_b32 v31, v14, v30, s3 :: v_dual_cndmask_b32 v32, v29, v15, s3
	s_delay_alu instid0(VALU_DEP_1) | instskip(NEXT) | instid1(VALU_DEP_2)
	v_cmp_ge_i32_e64 s5, v31, v28
	v_cmp_lt_i32_e64 s6, v32, v27
	s_or_b32 s4, s5, s4
	s_delay_alu instid0(SALU_CYCLE_1) | instskip(NEXT) | instid1(SALU_CYCLE_1)
	s_and_b32 s4, s6, s4
	s_xor_b32 s5, s4, -1
	s_delay_alu instid0(SALU_CYCLE_1) | instskip(NEXT) | instid1(SALU_CYCLE_1)
	s_and_saveexec_b32 s6, s5
	s_xor_b32 s5, exec_lo, s6
; %bb.26:
	v_lshl_add_u32 v14, v31, 3, v24
	ds_load_b64 v[18:19], v14 offset:8
; %bb.27:
	s_or_saveexec_b32 s5, s5
	v_mov_b64_e32 v[20:21], v[12:13]
	s_xor_b32 exec_lo, exec_lo, s5
	s_cbranch_execz .LBB12_29
; %bb.28:
	v_lshl_add_u32 v14, v32, 3, v24
	s_wait_dscnt 0x0
	v_mov_b64_e32 v[18:19], v[10:11]
	ds_load_b64 v[20:21], v14 offset:8
.LBB12_29:
	s_or_b32 exec_lo, exec_lo, s5
	v_dual_add_nc_u32 v14, 1, v31 :: v_dual_add_nc_u32 v15, 1, v32
	s_wait_dscnt 0x0
	s_delay_alu instid0(VALU_DEP_2) | instskip(NEXT) | instid1(VALU_DEP_2)
	v_cmp_lt_i64_e64 s5, v[20:21], v[18:19]
	v_cndmask_b32_e64 v34, v14, v31, s4
	s_delay_alu instid0(VALU_DEP_3) | instskip(NEXT) | instid1(VALU_DEP_2)
	v_cndmask_b32_e64 v33, v32, v15, s4
                                        ; implicit-def: $vgpr14_vgpr15
	v_cmp_ge_i32_e64 s6, v34, v28
	s_delay_alu instid0(VALU_DEP_2) | instskip(SKIP_1) | instid1(SALU_CYCLE_1)
	v_cmp_lt_i32_e64 s7, v33, v27
	s_or_b32 s5, s6, s5
	s_and_b32 s5, s7, s5
	s_delay_alu instid0(SALU_CYCLE_1) | instskip(NEXT) | instid1(SALU_CYCLE_1)
	s_xor_b32 s6, s5, -1
	s_and_saveexec_b32 s7, s6
	s_delay_alu instid0(SALU_CYCLE_1)
	s_xor_b32 s6, exec_lo, s7
; %bb.30:
	v_lshl_add_u32 v14, v34, 3, v24
	ds_load_b64 v[14:15], v14 offset:8
; %bb.31:
	s_or_saveexec_b32 s6, s6
	v_mov_b64_e32 v[16:17], v[20:21]
	s_xor_b32 exec_lo, exec_lo, s6
	s_cbranch_execz .LBB12_33
; %bb.32:
	s_wait_dscnt 0x0
	v_lshl_add_u32 v14, v33, 3, v24
	ds_load_b64 v[16:17], v14 offset:8
	v_mov_b64_e32 v[14:15], v[18:19]
.LBB12_33:
	s_or_b32 exec_lo, exec_lo, s6
	v_dual_add_nc_u32 v35, 1, v34 :: v_dual_cndmask_b32 v37, v19, v21, s5
	v_dual_add_nc_u32 v19, 1, v33 :: v_dual_cndmask_b32 v36, v18, v20, s5
	s_delay_alu instid0(VALU_DEP_2) | instskip(NEXT) | instid1(VALU_DEP_2)
	v_dual_cndmask_b32 v38, v34, v33, s5 :: v_dual_cndmask_b32 v20, v35, v34, s5
	v_dual_cndmask_b32 v31, v31, v32, s4 :: v_dual_cndmask_b32 v19, v33, v19, s5
	s_wait_dscnt 0x0
	v_cmp_lt_i64_e64 s5, v[16:17], v[14:15]
	v_dual_cndmask_b32 v21, v30, v29, s3 :: v_dual_bitop2_b32 v18, 16, v26 bitop3:0x40
	v_cmp_ge_i32_e64 s6, v20, v28
	v_cmp_lt_i32_e64 s7, v19, v27
	v_mad_i32_i24 v27, v23, -6, v25
	; wave barrier
	s_or_b32 s5, s6, s5
	v_lshl_add_u32 v28, v38, 1, v24
	s_and_b32 s5, s7, s5
	s_delay_alu instid0(SALU_CYCLE_1)
	v_dual_cndmask_b32 v15, v15, v17, s5 :: v_dual_min_i32 v18, v22, v18
	v_cndmask_b32_e64 v17, v20, v19, s5
	ds_store_b64 v27, v[4:5]
	v_lshl_add_u32 v5, v21, 1, v24
	v_lshl_add_u32 v19, v31, 1, v24
	v_add_min_i32_e64 v20, v18, 8, v22
	v_and_b32_e32 v4, 12, v26
	v_lshl_add_u32 v17, v17, 1, v24
	; wave barrier
	ds_load_u16 v26, v5
	ds_load_u16 v27, v19
	;; [unrolled: 1-line block ×4, first 2 shown]
	v_add_min_i32_e64 v21, v20, 8, v22
	v_dual_cndmask_b32 v11, v11, v13, s4 :: v_dual_min_i32 v4, v22, v4
	v_dual_sub_nc_u32 v17, v20, v18 :: v_dual_cndmask_b32 v13, v7, v9, s3
	s_delay_alu instid0(VALU_DEP_3) | instskip(SKIP_1) | instid1(VALU_DEP_3)
	v_sub_nc_u32_e32 v30, v21, v20
	v_cndmask_b32_e64 v10, v10, v12, s4
	v_dual_cndmask_b32 v12, v6, v8, s3 :: v_dual_min_i32 v6, v4, v17
	s_mov_b32 s4, exec_lo
	s_delay_alu instid0(VALU_DEP_3)
	v_sub_nc_u32_e32 v5, v4, v30
	v_cmp_ge_i32_e64 s3, v4, v30
	v_cndmask_b32_e64 v14, v14, v16, s5
	s_mov_b32 s5, 0
	; wave barrier
	v_cndmask_b32_e64 v8, 0, v5, s3
	v_lshl_add_u32 v5, v18, 3, v24
	ds_store_2addr_b64 v25, v[12:13], v[10:11] offset1:1
	ds_store_2addr_b64 v25, v[36:37], v[14:15] offset0:2 offset1:3
	; wave barrier
	v_cmpx_lt_i32_e64 v8, v6
	s_cbranch_execz .LBB12_37
; %bb.34:
	v_lshlrev_b32_e32 v7, 3, v20
	v_lshlrev_b32_e32 v9, 3, v4
	s_delay_alu instid0(VALU_DEP_1)
	v_add3_u32 v7, v24, v7, v9
.LBB12_35:                              ; =>This Inner Loop Header: Depth=1
	v_sub_nc_u32_e32 v9, v6, v8
	s_delay_alu instid0(VALU_DEP_1) | instskip(NEXT) | instid1(VALU_DEP_1)
	v_lshrrev_b32_e32 v9, 1, v9
	v_add_nc_u32_e32 v9, v9, v8
	s_delay_alu instid0(VALU_DEP_1) | instskip(SKIP_1) | instid1(VALU_DEP_2)
	v_not_b32_e32 v10, v9
	v_lshl_add_u32 v11, v9, 3, v5
	v_lshl_add_u32 v12, v10, 3, v7
	ds_load_b64 v[10:11], v11
	ds_load_b64 v[12:13], v12
	s_wait_dscnt 0x0
	v_cmp_lt_i64_e64 s3, v[12:13], v[10:11]
	s_delay_alu instid0(VALU_DEP_1) | instskip(NEXT) | instid1(VALU_DEP_1)
	v_dual_add_nc_u32 v10, 1, v9 :: v_dual_cndmask_b32 v6, v6, v9, s3
	v_cndmask_b32_e64 v8, v10, v8, s3
	s_delay_alu instid0(VALU_DEP_1) | instskip(SKIP_1) | instid1(SALU_CYCLE_1)
	v_cmp_ge_i32_e64 s3, v8, v6
	s_or_b32 s5, s3, s5
	s_and_not1_b32 exec_lo, exec_lo, s5
	s_cbranch_execnz .LBB12_35
; %bb.36:
	s_or_b32 exec_lo, exec_lo, s5
.LBB12_37:
	s_delay_alu instid0(SALU_CYCLE_1) | instskip(SKIP_4) | instid1(VALU_DEP_4)
	s_or_b32 exec_lo, exec_lo, s4
	v_add_nc_u32_e32 v4, v20, v4
	v_lshl_add_u32 v10, v8, 3, v5
	v_add_nc_u32_e32 v32, v8, v18
	v_mul_i32_i24_e32 v30, -6, v23
	v_sub_nc_u32_e32 v31, v4, v8
                                        ; implicit-def: $vgpr8_vgpr9
	s_delay_alu instid0(VALU_DEP_3) | instskip(NEXT) | instid1(VALU_DEP_2)
	v_cmp_le_i32_e64 s4, v20, v32
	v_lshl_add_u32 v12, v31, 3, v24
	v_cmp_gt_i32_e64 s5, v21, v31
	ds_load_b64 v[4:5], v10
	ds_load_b64 v[6:7], v12
	s_wait_dscnt 0x0
	v_cmp_lt_i64_e64 s3, v[6:7], v[4:5]
	s_or_b32 s3, s4, s3
	s_delay_alu instid0(SALU_CYCLE_1) | instskip(NEXT) | instid1(SALU_CYCLE_1)
	s_and_b32 s3, s5, s3
	s_xor_b32 s4, s3, -1
	s_delay_alu instid0(SALU_CYCLE_1) | instskip(NEXT) | instid1(SALU_CYCLE_1)
	s_and_saveexec_b32 s5, s4
	s_xor_b32 s4, exec_lo, s5
; %bb.38:
	ds_load_b64 v[8:9], v10 offset:8
                                        ; implicit-def: $vgpr12
; %bb.39:
	s_or_saveexec_b32 s4, s4
	v_mov_b64_e32 v[10:11], v[6:7]
	s_xor_b32 exec_lo, exec_lo, s4
	s_cbranch_execz .LBB12_41
; %bb.40:
	ds_load_b64 v[10:11], v12 offset:8
	s_wait_dscnt 0x1
	v_mov_b64_e32 v[8:9], v[4:5]
.LBB12_41:
	s_or_b32 exec_lo, exec_lo, s4
	v_dual_add_nc_u32 v12, 1, v32 :: v_dual_add_nc_u32 v13, 1, v31
	s_wait_dscnt 0x0
	s_delay_alu instid0(VALU_DEP_2) | instskip(NEXT) | instid1(VALU_DEP_2)
	v_cmp_lt_i64_e64 s4, v[10:11], v[8:9]
                                        ; implicit-def: $vgpr16_vgpr17
	v_dual_cndmask_b32 v33, v12, v32, s3 :: v_dual_cndmask_b32 v34, v31, v13, s3
	s_delay_alu instid0(VALU_DEP_1) | instskip(NEXT) | instid1(VALU_DEP_2)
	v_cmp_ge_i32_e64 s5, v33, v20
	v_cmp_lt_i32_e64 s6, v34, v21
	s_or_b32 s4, s5, s4
	s_delay_alu instid0(SALU_CYCLE_1) | instskip(NEXT) | instid1(SALU_CYCLE_1)
	s_and_b32 s4, s6, s4
	s_xor_b32 s5, s4, -1
	s_delay_alu instid0(SALU_CYCLE_1) | instskip(NEXT) | instid1(SALU_CYCLE_1)
	s_and_saveexec_b32 s6, s5
	s_xor_b32 s5, exec_lo, s6
; %bb.42:
	v_lshl_add_u32 v12, v33, 3, v24
	ds_load_b64 v[16:17], v12 offset:8
; %bb.43:
	s_or_saveexec_b32 s5, s5
	v_mov_b64_e32 v[18:19], v[10:11]
	s_xor_b32 exec_lo, exec_lo, s5
	s_cbranch_execz .LBB12_45
; %bb.44:
	v_lshl_add_u32 v12, v34, 3, v24
	s_wait_dscnt 0x0
	v_mov_b64_e32 v[16:17], v[8:9]
	ds_load_b64 v[18:19], v12 offset:8
.LBB12_45:
	s_or_b32 exec_lo, exec_lo, s5
	v_dual_add_nc_u32 v12, 1, v33 :: v_dual_add_nc_u32 v13, 1, v34
	s_wait_dscnt 0x0
	s_delay_alu instid0(VALU_DEP_2) | instskip(NEXT) | instid1(VALU_DEP_2)
	v_cmp_lt_i64_e64 s5, v[18:19], v[16:17]
	v_cndmask_b32_e64 v36, v12, v33, s4
	s_delay_alu instid0(VALU_DEP_3) | instskip(NEXT) | instid1(VALU_DEP_2)
	v_cndmask_b32_e64 v35, v34, v13, s4
                                        ; implicit-def: $vgpr12_vgpr13
	v_cmp_ge_i32_e64 s6, v36, v20
	s_delay_alu instid0(VALU_DEP_2) | instskip(SKIP_1) | instid1(SALU_CYCLE_1)
	v_cmp_lt_i32_e64 s7, v35, v21
	s_or_b32 s5, s6, s5
	s_and_b32 s5, s7, s5
	s_delay_alu instid0(SALU_CYCLE_1) | instskip(NEXT) | instid1(SALU_CYCLE_1)
	s_xor_b32 s6, s5, -1
	s_and_saveexec_b32 s7, s6
	s_delay_alu instid0(SALU_CYCLE_1)
	s_xor_b32 s6, exec_lo, s7
; %bb.46:
	v_lshl_add_u32 v12, v36, 3, v24
	ds_load_b64 v[12:13], v12 offset:8
; %bb.47:
	s_or_saveexec_b32 s6, s6
	v_mov_b64_e32 v[14:15], v[18:19]
	s_xor_b32 exec_lo, exec_lo, s6
	s_cbranch_execz .LBB12_49
; %bb.48:
	s_wait_dscnt 0x0
	v_lshl_add_u32 v12, v35, 3, v24
	ds_load_b64 v[14:15], v12 offset:8
	v_mov_b64_e32 v[12:13], v[16:17]
.LBB12_49:
	s_or_b32 exec_lo, exec_lo, s6
	v_dual_add_nc_u32 v37, 1, v36 :: v_dual_cndmask_b32 v19, v17, v19, s5
	v_dual_add_nc_u32 v17, 1, v35 :: v_dual_cndmask_b32 v18, v16, v18, s5
	s_delay_alu instid0(VALU_DEP_2) | instskip(NEXT) | instid1(VALU_DEP_2)
	v_dual_cndmask_b32 v38, v36, v35, s5 :: v_dual_cndmask_b32 v36, v37, v36, s5
	v_dual_cndmask_b32 v33, v33, v34, s4 :: v_dual_cndmask_b32 v17, v35, v17, s5
	s_wait_dscnt 0x0
	v_cmp_lt_i64_e64 s5, v[14:15], v[12:13]
	v_cndmask_b32_e64 v31, v32, v31, s3
	v_cmp_ge_i32_e64 s6, v36, v20
	v_add_nc_u32_e32 v20, v25, v30
	v_cmp_lt_i32_e64 s7, v17, v21
	v_perm_b32 v29, v29, v28, 0x5040100
	v_perm_b32 v28, v27, v26, 0x5040100
	s_or_b32 s5, s6, s5
	v_lshl_add_u32 v27, v33, 1, v24
	s_and_b32 s5, s7, s5
	s_delay_alu instid0(SALU_CYCLE_1) | instskip(SKIP_2) | instid1(VALU_DEP_3)
	v_dual_cndmask_b32 v15, v13, v15, s5 :: v_dual_min_i32 v16, 0, v22
	v_dual_cndmask_b32 v13, v36, v17, s5 :: v_dual_cndmask_b32 v11, v9, v11, s4
	v_lshl_add_u32 v17, v31, 1, v24
	v_add_min_i32_e64 v21, v16, 16, v22
	; wave barrier
	ds_store_b64 v20, v[28:29]
	v_lshl_add_u32 v28, v38, 1, v24
	v_lshl_add_u32 v29, v13, 1, v24
	; wave barrier
	v_add_min_i32_e64 v26, v21, 16, v22
	v_dual_cndmask_b32 v10, v8, v10, s4 :: v_dual_min_i32 v13, v22, v23
	ds_load_u16 v22, v17
	ds_load_u16 v23, v27
	;; [unrolled: 1-line block ×4, first 2 shown]
	v_dual_sub_nc_u32 v9, v21, v16 :: v_dual_sub_nc_u32 v30, v26, v21
	v_dual_cndmask_b32 v7, v5, v7, s3 :: v_dual_cndmask_b32 v6, v4, v6, s3
	v_lshl_add_u32 v4, v16, 3, v24
	s_delay_alu instid0(VALU_DEP_3)
	v_dual_sub_nc_u32 v8, v13, v30 :: v_dual_min_i32 v5, v13, v9
	v_cmp_ge_i32_e64 s3, v13, v30
	v_cndmask_b32_e64 v14, v12, v14, s5
	s_mov_b32 s5, 0
	s_mov_b32 s4, exec_lo
	v_cndmask_b32_e64 v8, 0, v8, s3
	; wave barrier
	ds_store_2addr_b64 v25, v[6:7], v[10:11] offset1:1
	ds_store_2addr_b64 v25, v[18:19], v[14:15] offset0:2 offset1:3
	; wave barrier
	v_cmpx_lt_i32_e64 v8, v5
	s_cbranch_execz .LBB12_53
; %bb.50:
	v_lshlrev_b32_e32 v6, 3, v21
	v_lshlrev_b32_e32 v7, 3, v13
	s_delay_alu instid0(VALU_DEP_1)
	v_add3_u32 v6, v24, v6, v7
.LBB12_51:                              ; =>This Inner Loop Header: Depth=1
	v_sub_nc_u32_e32 v7, v5, v8
	s_delay_alu instid0(VALU_DEP_1) | instskip(NEXT) | instid1(VALU_DEP_1)
	v_lshrrev_b32_e32 v7, 1, v7
	v_add_nc_u32_e32 v7, v7, v8
	s_delay_alu instid0(VALU_DEP_1) | instskip(SKIP_1) | instid1(VALU_DEP_2)
	v_not_b32_e32 v9, v7
	v_lshl_add_u32 v10, v7, 3, v4
	v_lshl_add_u32 v9, v9, 3, v6
	ds_load_b64 v[10:11], v10
	ds_load_b64 v[14:15], v9
	s_wait_dscnt 0x0
	v_cmp_lt_i64_e64 s3, v[14:15], v[10:11]
	s_delay_alu instid0(VALU_DEP_1) | instskip(NEXT) | instid1(VALU_DEP_1)
	v_dual_add_nc_u32 v9, 1, v7 :: v_dual_cndmask_b32 v5, v5, v7, s3
	v_cndmask_b32_e64 v8, v9, v8, s3
	s_delay_alu instid0(VALU_DEP_1) | instskip(SKIP_1) | instid1(SALU_CYCLE_1)
	v_cmp_ge_i32_e64 s3, v8, v5
	s_or_b32 s5, s3, s5
	s_and_not1_b32 exec_lo, exec_lo, s5
	s_cbranch_execnz .LBB12_51
; %bb.52:
	s_or_b32 exec_lo, exec_lo, s5
.LBB12_53:
	s_delay_alu instid0(SALU_CYCLE_1) | instskip(SKIP_2) | instid1(VALU_DEP_2)
	s_or_b32 exec_lo, exec_lo, s4
	v_dual_add_nc_u32 v5, v21, v13 :: v_dual_add_nc_u32 v29, v8, v16
	v_lshl_add_u32 v10, v8, 3, v4
	v_sub_nc_u32_e32 v25, v5, v8
	s_delay_alu instid0(VALU_DEP_3) | instskip(NEXT) | instid1(VALU_DEP_2)
	v_cmp_le_i32_e64 s4, v21, v29
                                        ; implicit-def: $vgpr8_vgpr9
	v_lshl_add_u32 v12, v25, 3, v24
	v_cmp_gt_i32_e64 s5, v26, v25
	ds_load_b64 v[4:5], v10
	ds_load_b64 v[6:7], v12
	s_wait_dscnt 0x0
	v_cmp_lt_i64_e64 s3, v[6:7], v[4:5]
	s_or_b32 s3, s4, s3
	s_delay_alu instid0(SALU_CYCLE_1) | instskip(NEXT) | instid1(SALU_CYCLE_1)
	s_and_b32 s3, s5, s3
	s_xor_b32 s4, s3, -1
	s_delay_alu instid0(SALU_CYCLE_1) | instskip(NEXT) | instid1(SALU_CYCLE_1)
	s_and_saveexec_b32 s5, s4
	s_xor_b32 s4, exec_lo, s5
; %bb.54:
	ds_load_b64 v[8:9], v10 offset:8
                                        ; implicit-def: $vgpr12
; %bb.55:
	s_or_saveexec_b32 s4, s4
	v_mov_b64_e32 v[10:11], v[6:7]
	s_xor_b32 exec_lo, exec_lo, s4
	s_cbranch_execz .LBB12_57
; %bb.56:
	ds_load_b64 v[10:11], v12 offset:8
	s_wait_dscnt 0x1
	v_mov_b64_e32 v[8:9], v[4:5]
.LBB12_57:
	s_or_b32 exec_lo, exec_lo, s4
	v_add_nc_u32_e32 v12, 1, v29
	v_add_nc_u32_e32 v13, 1, v25
	s_wait_dscnt 0x0
	s_delay_alu instid0(VALU_DEP_3) | instskip(NEXT) | instid1(VALU_DEP_3)
	v_cmp_lt_i64_e64 s4, v[10:11], v[8:9]
	v_cndmask_b32_e64 v30, v12, v29, s3
	s_delay_alu instid0(VALU_DEP_3) | instskip(NEXT) | instid1(VALU_DEP_2)
	v_cndmask_b32_e64 v31, v25, v13, s3
                                        ; implicit-def: $vgpr12_vgpr13
	v_cmp_ge_i32_e64 s5, v30, v21
	s_delay_alu instid0(VALU_DEP_2) | instskip(SKIP_1) | instid1(SALU_CYCLE_1)
	v_cmp_lt_i32_e64 s6, v31, v26
	s_or_b32 s4, s5, s4
	s_and_b32 s4, s6, s4
	s_delay_alu instid0(SALU_CYCLE_1) | instskip(NEXT) | instid1(SALU_CYCLE_1)
	s_xor_b32 s5, s4, -1
	s_and_saveexec_b32 s6, s5
	s_delay_alu instid0(SALU_CYCLE_1)
	s_xor_b32 s5, exec_lo, s6
; %bb.58:
	v_lshl_add_u32 v12, v30, 3, v24
	ds_load_b64 v[12:13], v12 offset:8
; %bb.59:
	s_or_saveexec_b32 s5, s5
	v_mov_b64_e32 v[14:15], v[10:11]
	s_xor_b32 exec_lo, exec_lo, s5
	s_cbranch_execz .LBB12_61
; %bb.60:
	s_wait_dscnt 0x0
	v_lshl_add_u32 v12, v31, 3, v24
	ds_load_b64 v[14:15], v12 offset:8
	v_mov_b64_e32 v[12:13], v[8:9]
.LBB12_61:
	s_or_b32 exec_lo, exec_lo, s5
	v_dual_add_nc_u32 v16, 1, v30 :: v_dual_add_nc_u32 v17, 1, v31
	s_wait_dscnt 0x0
	s_delay_alu instid0(VALU_DEP_2) | instskip(NEXT) | instid1(VALU_DEP_2)
	v_cmp_lt_i64_e64 s5, v[14:15], v[12:13]
                                        ; implicit-def: $vgpr34
	v_dual_cndmask_b32 v35, v16, v30, s4 :: v_dual_cndmask_b32 v32, v31, v17, s4
                                        ; implicit-def: $vgpr16_vgpr17
	s_delay_alu instid0(VALU_DEP_1) | instskip(NEXT) | instid1(VALU_DEP_2)
	v_cmp_ge_i32_e64 s6, v35, v21
	v_cmp_lt_i32_e64 s7, v32, v26
	s_or_b32 s5, s6, s5
	s_delay_alu instid0(SALU_CYCLE_1) | instskip(NEXT) | instid1(SALU_CYCLE_1)
	s_and_b32 s5, s7, s5
	s_xor_b32 s6, s5, -1
	s_delay_alu instid0(SALU_CYCLE_1) | instskip(NEXT) | instid1(SALU_CYCLE_1)
	s_and_saveexec_b32 s7, s6
	s_xor_b32 s6, exec_lo, s7
; %bb.62:
	v_lshl_add_u32 v16, v35, 3, v24
	v_add_nc_u32_e32 v34, 1, v35
	ds_load_b64 v[16:17], v16 offset:8
; %bb.63:
	s_or_saveexec_b32 s6, s6
	v_mov_b64_e32 v[18:19], v[14:15]
	v_mov_b32_e32 v33, v35
	s_xor_b32 exec_lo, exec_lo, s6
	s_cbranch_execz .LBB12_65
; %bb.64:
	s_wait_dscnt 0x0
	v_lshl_add_u32 v16, v32, 3, v24
	v_mov_b32_e32 v33, v32
	ds_load_b64 v[18:19], v16 offset:8
	v_dual_add_nc_u32 v16, 1, v32 :: v_dual_mov_b32 v34, v35
	s_delay_alu instid0(VALU_DEP_1)
	v_mov_b32_e32 v32, v16
	v_mov_b64_e32 v[16:17], v[12:13]
.LBB12_65:
	s_or_b32 exec_lo, exec_lo, s6
	s_wait_dscnt 0x0
	s_delay_alu instid0(VALU_DEP_1)
	v_cmp_lt_i64_e64 s6, v[18:19], v[16:17]
	v_cmp_ge_i32_e64 s7, v34, v21
	v_cmp_lt_i32_e64 s8, v32, v26
	v_dual_cndmask_b32 v21, v30, v31, s4 :: v_dual_cndmask_b32 v25, v29, v25, s3
	v_perm_b32 v27, v28, v27, 0x5040100
	v_perm_b32 v26, v23, v22, 0x5040100
	s_or_b32 s6, s7, s6
	s_delay_alu instid0(SALU_CYCLE_1) | instskip(NEXT) | instid1(SALU_CYCLE_1)
	s_and_b32 s6, s8, s6
	; wave barrier
	v_cndmask_b32_e64 v22, v34, v32, s6
	ds_store_b64 v20, v[26:27]
	v_lshl_add_u32 v20, v25, 1, v24
	v_lshl_add_u32 v21, v21, 1, v24
	;; [unrolled: 1-line block ×4, first 2 shown]
	; wave barrier
	ds_load_u16 v23, v20
	ds_load_u16 v22, v21
	;; [unrolled: 1-line block ×4, first 2 shown]
	s_and_saveexec_b32 s7, vcc_lo
	s_cbranch_execnz .LBB12_77
; %bb.66:
	s_or_b32 exec_lo, exec_lo, s7
	s_and_saveexec_b32 s3, s0
	s_cbranch_execnz .LBB12_78
.LBB12_67:
	s_or_b32 exec_lo, exec_lo, s3
	s_and_saveexec_b32 s3, s1
	s_cbranch_execnz .LBB12_79
.LBB12_68:
	s_or_b32 exec_lo, exec_lo, s3
	s_and_saveexec_b32 s3, s2
	s_cbranch_execnz .LBB12_80
.LBB12_69:
	s_or_b32 exec_lo, exec_lo, s3
	s_and_saveexec_b32 s3, vcc_lo
	s_cbranch_execnz .LBB12_81
.LBB12_70:
	s_or_b32 exec_lo, exec_lo, s3
	s_and_saveexec_b32 s3, s0
	s_cbranch_execnz .LBB12_82
.LBB12_71:
	s_or_b32 exec_lo, exec_lo, s3
	s_and_saveexec_b32 s0, s1
	s_cbranch_execnz .LBB12_83
.LBB12_72:
	s_or_b32 exec_lo, exec_lo, s0
	s_and_saveexec_b32 s0, s2
	s_cbranch_execnz .LBB12_84
.LBB12_73:
	s_endpgm
.LBB12_74:
	global_load_u16 v4, v[2:3], off
	s_wait_loadcnt 0x0
	v_and_b32_e32 v4, 0xffff, v4
	s_or_b32 exec_lo, exec_lo, s3
	s_and_saveexec_b32 s3, s0
	s_cbranch_execz .LBB12_10
.LBB12_75:
	global_load_u16 v13, v[2:3], off offset:2
	s_wait_loadcnt 0x0
	v_perm_b32 v4, v13, v4, 0x5040100
	s_or_b32 exec_lo, exec_lo, s3
	s_and_saveexec_b32 s3, s1
	s_cbranch_execz .LBB12_11
.LBB12_76:
	global_load_u16 v13, v[2:3], off offset:4
	s_wait_loadcnt 0x0
	v_bfi_b32 v5, 0xffff, v13, v5
	s_or_b32 exec_lo, exec_lo, s3
	s_and_saveexec_b32 s3, s2
	s_cbranch_execnz .LBB12_12
	s_branch .LBB12_13
.LBB12_77:
	v_dual_cndmask_b32 v5, v5, v7, s3 :: v_dual_cndmask_b32 v4, v4, v6, s3
	global_store_b64 v[0:1], v[4:5], off
	s_wait_xcnt 0x0
	s_or_b32 exec_lo, exec_lo, s7
	s_and_saveexec_b32 s3, s0
	s_cbranch_execz .LBB12_67
.LBB12_78:
	v_dual_cndmask_b32 v5, v9, v11, s4 :: v_dual_cndmask_b32 v4, v8, v10, s4
	global_store_b64 v[0:1], v[4:5], off offset:8
	s_wait_xcnt 0x0
	s_or_b32 exec_lo, exec_lo, s3
	s_and_saveexec_b32 s3, s1
	s_cbranch_execz .LBB12_68
.LBB12_79:
	v_dual_cndmask_b32 v5, v13, v15, s5 :: v_dual_cndmask_b32 v4, v12, v14, s5
	global_store_b64 v[0:1], v[4:5], off offset:16
	s_wait_xcnt 0x0
	s_or_b32 exec_lo, exec_lo, s3
	s_and_saveexec_b32 s3, s2
	s_cbranch_execz .LBB12_69
.LBB12_80:
	v_dual_cndmask_b32 v5, v17, v19, s6 :: v_dual_cndmask_b32 v4, v16, v18, s6
	global_store_b64 v[0:1], v[4:5], off offset:24
	s_wait_xcnt 0x0
	s_or_b32 exec_lo, exec_lo, s3
	s_and_saveexec_b32 s3, vcc_lo
	s_cbranch_execz .LBB12_70
.LBB12_81:
	s_wait_dscnt 0x3
	global_store_b16 v[2:3], v23, off
	s_wait_xcnt 0x0
	s_or_b32 exec_lo, exec_lo, s3
	s_and_saveexec_b32 s3, s0
	s_cbranch_execz .LBB12_71
.LBB12_82:
	s_wait_dscnt 0x2
	global_store_b16 v[2:3], v22, off offset:2
	s_wait_xcnt 0x0
	s_or_b32 exec_lo, exec_lo, s3
	s_and_saveexec_b32 s0, s1
	s_cbranch_execz .LBB12_72
.LBB12_83:
	s_wait_dscnt 0x1
	global_store_b16 v[2:3], v21, off offset:4
	s_wait_xcnt 0x0
	s_or_b32 exec_lo, exec_lo, s0
	s_and_saveexec_b32 s0, s2
	s_cbranch_execz .LBB12_73
.LBB12_84:
	s_wait_dscnt 0x0
	global_store_b16 v[2:3], v20, off offset:6
	s_endpgm
	.section	.rodata,"a",@progbits
	.p2align	6, 0x0
	.amdhsa_kernel _Z26sort_keys_values_segmentedILj256ELj8ELj4ELb1ExsN10test_utils4lessEEvPT3_PT4_PKjT5_
		.amdhsa_group_segment_fixed_size 8448
		.amdhsa_private_segment_fixed_size 0
		.amdhsa_kernarg_size 28
		.amdhsa_user_sgpr_count 2
		.amdhsa_user_sgpr_dispatch_ptr 0
		.amdhsa_user_sgpr_queue_ptr 0
		.amdhsa_user_sgpr_kernarg_segment_ptr 1
		.amdhsa_user_sgpr_dispatch_id 0
		.amdhsa_user_sgpr_kernarg_preload_length 0
		.amdhsa_user_sgpr_kernarg_preload_offset 0
		.amdhsa_user_sgpr_private_segment_size 0
		.amdhsa_wavefront_size32 1
		.amdhsa_uses_dynamic_stack 0
		.amdhsa_enable_private_segment 0
		.amdhsa_system_sgpr_workgroup_id_x 1
		.amdhsa_system_sgpr_workgroup_id_y 0
		.amdhsa_system_sgpr_workgroup_id_z 0
		.amdhsa_system_sgpr_workgroup_info 0
		.amdhsa_system_vgpr_workitem_id 0
		.amdhsa_next_free_vgpr 39
		.amdhsa_next_free_sgpr 9
		.amdhsa_named_barrier_count 0
		.amdhsa_reserve_vcc 1
		.amdhsa_float_round_mode_32 0
		.amdhsa_float_round_mode_16_64 0
		.amdhsa_float_denorm_mode_32 3
		.amdhsa_float_denorm_mode_16_64 3
		.amdhsa_fp16_overflow 0
		.amdhsa_memory_ordered 1
		.amdhsa_forward_progress 1
		.amdhsa_inst_pref_size 33
		.amdhsa_round_robin_scheduling 0
		.amdhsa_exception_fp_ieee_invalid_op 0
		.amdhsa_exception_fp_denorm_src 0
		.amdhsa_exception_fp_ieee_div_zero 0
		.amdhsa_exception_fp_ieee_overflow 0
		.amdhsa_exception_fp_ieee_underflow 0
		.amdhsa_exception_fp_ieee_inexact 0
		.amdhsa_exception_int_div_zero 0
	.end_amdhsa_kernel
	.section	.text._Z26sort_keys_values_segmentedILj256ELj8ELj4ELb1ExsN10test_utils4lessEEvPT3_PT4_PKjT5_,"axG",@progbits,_Z26sort_keys_values_segmentedILj256ELj8ELj4ELb1ExsN10test_utils4lessEEvPT3_PT4_PKjT5_,comdat
.Lfunc_end12:
	.size	_Z26sort_keys_values_segmentedILj256ELj8ELj4ELb1ExsN10test_utils4lessEEvPT3_PT4_PKjT5_, .Lfunc_end12-_Z26sort_keys_values_segmentedILj256ELj8ELj4ELb1ExsN10test_utils4lessEEvPT3_PT4_PKjT5_
                                        ; -- End function
	.set _Z26sort_keys_values_segmentedILj256ELj8ELj4ELb1ExsN10test_utils4lessEEvPT3_PT4_PKjT5_.num_vgpr, 39
	.set _Z26sort_keys_values_segmentedILj256ELj8ELj4ELb1ExsN10test_utils4lessEEvPT3_PT4_PKjT5_.num_agpr, 0
	.set _Z26sort_keys_values_segmentedILj256ELj8ELj4ELb1ExsN10test_utils4lessEEvPT3_PT4_PKjT5_.numbered_sgpr, 9
	.set _Z26sort_keys_values_segmentedILj256ELj8ELj4ELb1ExsN10test_utils4lessEEvPT3_PT4_PKjT5_.num_named_barrier, 0
	.set _Z26sort_keys_values_segmentedILj256ELj8ELj4ELb1ExsN10test_utils4lessEEvPT3_PT4_PKjT5_.private_seg_size, 0
	.set _Z26sort_keys_values_segmentedILj256ELj8ELj4ELb1ExsN10test_utils4lessEEvPT3_PT4_PKjT5_.uses_vcc, 1
	.set _Z26sort_keys_values_segmentedILj256ELj8ELj4ELb1ExsN10test_utils4lessEEvPT3_PT4_PKjT5_.uses_flat_scratch, 0
	.set _Z26sort_keys_values_segmentedILj256ELj8ELj4ELb1ExsN10test_utils4lessEEvPT3_PT4_PKjT5_.has_dyn_sized_stack, 0
	.set _Z26sort_keys_values_segmentedILj256ELj8ELj4ELb1ExsN10test_utils4lessEEvPT3_PT4_PKjT5_.has_recursion, 0
	.set _Z26sort_keys_values_segmentedILj256ELj8ELj4ELb1ExsN10test_utils4lessEEvPT3_PT4_PKjT5_.has_indirect_call, 0
	.section	.AMDGPU.csdata,"",@progbits
; Kernel info:
; codeLenInByte = 4192
; TotalNumSgprs: 11
; NumVgprs: 39
; ScratchSize: 0
; MemoryBound: 0
; FloatMode: 240
; IeeeMode: 1
; LDSByteSize: 8448 bytes/workgroup (compile time only)
; SGPRBlocks: 0
; VGPRBlocks: 2
; NumSGPRsForWavesPerEU: 11
; NumVGPRsForWavesPerEU: 39
; NamedBarCnt: 0
; Occupancy: 16
; WaveLimiterHint : 0
; COMPUTE_PGM_RSRC2:SCRATCH_EN: 0
; COMPUTE_PGM_RSRC2:USER_SGPR: 2
; COMPUTE_PGM_RSRC2:TRAP_HANDLER: 0
; COMPUTE_PGM_RSRC2:TGID_X_EN: 1
; COMPUTE_PGM_RSRC2:TGID_Y_EN: 0
; COMPUTE_PGM_RSRC2:TGID_Z_EN: 0
; COMPUTE_PGM_RSRC2:TIDIG_COMP_CNT: 0
	.section	.text._Z26sort_keys_values_segmentedILj256ELj32ELj8ELb0EN10test_utils16custom_test_typeIfEEiNS0_4lessEEvPT3_PT4_PKjT5_,"axG",@progbits,_Z26sort_keys_values_segmentedILj256ELj32ELj8ELb0EN10test_utils16custom_test_typeIfEEiNS0_4lessEEvPT3_PT4_PKjT5_,comdat
	.protected	_Z26sort_keys_values_segmentedILj256ELj32ELj8ELb0EN10test_utils16custom_test_typeIfEEiNS0_4lessEEvPT3_PT4_PKjT5_ ; -- Begin function _Z26sort_keys_values_segmentedILj256ELj32ELj8ELb0EN10test_utils16custom_test_typeIfEEiNS0_4lessEEvPT3_PT4_PKjT5_
	.globl	_Z26sort_keys_values_segmentedILj256ELj32ELj8ELb0EN10test_utils16custom_test_typeIfEEiNS0_4lessEEvPT3_PT4_PKjT5_
	.p2align	8
	.type	_Z26sort_keys_values_segmentedILj256ELj32ELj8ELb0EN10test_utils16custom_test_typeIfEEiNS0_4lessEEvPT3_PT4_PKjT5_,@function
_Z26sort_keys_values_segmentedILj256ELj32ELj8ELb0EN10test_utils16custom_test_typeIfEEiNS0_4lessEEvPT3_PT4_PKjT5_: ; @_Z26sort_keys_values_segmentedILj256ELj32ELj8ELb0EN10test_utils16custom_test_typeIfEEiNS0_4lessEEvPT3_PT4_PKjT5_
; %bb.0:
	s_clause 0x1
	s_load_b64 s[2:3], s[0:1], 0x10
	s_load_b128 s[8:11], s[0:1], 0x0
	s_bfe_u32 s4, ttmp6, 0x4000c
	s_and_b32 s5, ttmp6, 15
	s_add_co_i32 s4, s4, 1
	s_getreg_b32 s6, hwreg(HW_REG_IB_STS2, 6, 4)
	s_mul_i32 s4, ttmp9, s4
	v_lshrrev_b32_e32 v36, 5, v0
	s_add_co_i32 s5, s5, s4
	s_cmp_eq_u32 s6, 0
	v_mbcnt_lo_u32_b32 v6, -1, 0
	s_cselect_b32 s4, ttmp9, s5
	v_mov_b32_e32 v3, 0
	v_lshl_or_b32 v0, s4, 3, v36
	v_mov_b64_e32 v[14:15], 0
	v_dual_lshlrev_b32 v4, 6, v6 :: v_dual_lshlrev_b32 v45, 3, v6
	s_delay_alu instid0(VALU_DEP_3)
	v_dual_mov_b32 v5, v3 :: v_dual_lshlrev_b32 v2, 8, v0
	v_mov_b64_e32 v[8:9], 0
	s_wait_kmcnt 0x0
	global_load_b32 v44, v0, s[2:3] scale_offset
	s_wait_xcnt 0x0
	v_lshl_add_u64 v[0:1], v[2:3], 3, s[8:9]
	s_delay_alu instid0(VALU_DEP_1)
	v_add_nc_u64_e32 v[0:1], v[0:1], v[4:5]
	s_wait_loadcnt 0x0
	v_cmp_lt_u32_e32 vcc_lo, v45, v44
	s_and_saveexec_b32 s0, vcc_lo
	s_cbranch_execz .LBB13_2
; %bb.1:
	global_load_b64 v[8:9], v[0:1], off
.LBB13_2:
	s_wait_xcnt 0x0
	s_or_b32 exec_lo, exec_lo, s0
	v_or_b32_e32 v30, 1, v45
	s_delay_alu instid0(VALU_DEP_1)
	v_cmp_lt_u32_e64 s0, v30, v44
	s_and_saveexec_b32 s1, s0
	s_cbranch_execz .LBB13_4
; %bb.3:
	global_load_b64 v[14:15], v[0:1], off offset:8
.LBB13_4:
	s_wait_xcnt 0x0
	s_or_b32 exec_lo, exec_lo, s1
	v_dual_mov_b32 v16, 0 :: v_dual_bitop2_b32 v21, 2, v45 bitop3:0x54
	v_dual_mov_b32 v22, 0 :: v_dual_mov_b32 v23, 0
	s_delay_alu instid0(VALU_DEP_2)
	v_cmp_lt_u32_e64 s1, v21, v44
	s_and_saveexec_b32 s2, s1
	s_cbranch_execz .LBB13_6
; %bb.5:
	global_load_b64 v[22:23], v[0:1], off offset:16
.LBB13_6:
	s_wait_xcnt 0x0
	s_or_b32 exec_lo, exec_lo, s2
	v_dual_mov_b32 v17, 0 :: v_dual_bitop2_b32 v37, 3, v45 bitop3:0x54
	s_delay_alu instid0(VALU_DEP_1)
	v_cmp_lt_u32_e64 s2, v37, v44
	s_and_saveexec_b32 s3, s2
	s_cbranch_execz .LBB13_8
; %bb.7:
	global_load_b64 v[16:17], v[0:1], off offset:24
.LBB13_8:
	s_wait_xcnt 0x0
	s_or_b32 exec_lo, exec_lo, s3
	v_dual_mov_b32 v24, 0 :: v_dual_bitop2_b32 v35, 4, v45 bitop3:0x54
	v_dual_mov_b32 v18, 0 :: v_dual_mov_b32 v19, 0
	s_delay_alu instid0(VALU_DEP_2)
	v_cmp_lt_u32_e64 s3, v35, v44
	s_and_saveexec_b32 s4, s3
	s_cbranch_execz .LBB13_10
; %bb.9:
	global_load_b64 v[18:19], v[0:1], off offset:32
.LBB13_10:
	s_wait_xcnt 0x0
	s_or_b32 exec_lo, exec_lo, s4
	v_dual_mov_b32 v25, 0 :: v_dual_bitop2_b32 v34, 5, v45 bitop3:0x54
	;; [unrolled: 21-line block ×3, first 2 shown]
	s_delay_alu instid0(VALU_DEP_1)
	v_cmp_lt_u32_e64 s6, v20, v44
	s_and_saveexec_b32 s7, s6
	s_cbranch_execz .LBB13_16
; %bb.15:
	global_load_b64 v[26:27], v[0:1], off offset:56
.LBB13_16:
	s_wait_xcnt 0x0
	s_or_b32 exec_lo, exec_lo, s7
	v_lshl_add_u64 v[2:3], v[2:3], 2, s[10:11]
	v_dual_mov_b32 v5, 0 :: v_dual_lshlrev_b32 v4, 2, v45
	s_delay_alu instid0(VALU_DEP_1)
	v_add_nc_u64_e32 v[2:3], v[2:3], v[4:5]
                                        ; implicit-def: $vgpr4
	s_and_saveexec_b32 s7, vcc_lo
	s_cbranch_execnz .LBB13_174
; %bb.17:
	s_or_b32 exec_lo, exec_lo, s7
	s_and_saveexec_b32 s7, s0
	s_cbranch_execnz .LBB13_175
.LBB13_18:
	s_or_b32 exec_lo, exec_lo, s7
	s_and_saveexec_b32 s7, s1
                                        ; implicit-def: $vgpr6_vgpr7
	s_cbranch_execnz .LBB13_176
.LBB13_19:
	s_or_b32 exec_lo, exec_lo, s7
	s_and_saveexec_b32 s7, s2
	s_cbranch_execnz .LBB13_177
.LBB13_20:
	s_or_b32 exec_lo, exec_lo, s7
                                        ; implicit-def: $vgpr10
	s_and_saveexec_b32 s7, s3
	s_cbranch_execnz .LBB13_178
.LBB13_21:
	s_or_b32 exec_lo, exec_lo, s7
	s_and_saveexec_b32 s7, s4
	s_cbranch_execnz .LBB13_179
.LBB13_22:
	s_or_b32 exec_lo, exec_lo, s7
	s_and_saveexec_b32 s7, s5
                                        ; implicit-def: $vgpr12_vgpr13
	s_cbranch_execnz .LBB13_180
.LBB13_23:
	s_or_b32 exec_lo, exec_lo, s7
	s_and_saveexec_b32 s7, s6
	s_cbranch_execz .LBB13_25
.LBB13_24:
	global_load_b32 v13, v[2:3], off offset:28
.LBB13_25:
	s_wait_xcnt 0x0
	s_or_b32 exec_lo, exec_lo, s7
	s_get_pc_i64 s[10:11]
	s_add_nc_u64 s[10:11], s[10:11], _ZN9sort_lastIN10test_utils4lessENS0_16custom_test_typeIfEEE5valueE@rel64+4
	v_cmp_lt_i32_e64 s7, v30, v44
	s_load_b64 s[8:9], s[10:11], 0x0
	s_wait_kmcnt 0x0
	v_mov_b64_e32 v[30:31], s[8:9]
	v_dual_mov_b32 v38, s8 :: v_dual_mov_b32 v32, s9
	s_and_saveexec_b32 s10, s7
	s_cbranch_execz .LBB13_31
; %bb.26:
	s_mov_b32 s12, -1
	s_mov_b32 s11, exec_lo
	s_wait_loadcnt 0x0
	v_cmpx_nlt_f32_e32 s8, v14
	s_cbranch_execz .LBB13_30
; %bb.27:
	s_mov_b32 s12, 0
	s_mov_b32 s13, exec_lo
	v_cmpx_eq_f32_e32 s8, v14
; %bb.28:
	v_cmp_lt_f32_e64 s7, s9, v15
	s_and_b32 s12, s7, exec_lo
; %bb.29:
	s_or_b32 exec_lo, exec_lo, s13
	s_delay_alu instid0(SALU_CYCLE_1)
	s_or_not1_b32 s12, s12, exec_lo
.LBB13_30:
	s_or_b32 exec_lo, exec_lo, s11
	v_mov_b64_e32 v[30:31], v[14:15]
	v_cndmask_b32_e64 v38, s8, v14, s12
	v_cndmask_b32_e64 v32, s9, v15, s12
.LBB13_31:
	s_or_b32 exec_lo, exec_lo, s10
	v_cmp_lt_i32_e64 s7, v21, v44
	s_wait_loadcnt 0x0
	s_delay_alu instid0(VALU_DEP_2)
	v_dual_mov_b32 v21, v38 :: v_dual_mov_b32 v14, v32
	s_and_saveexec_b32 s8, s7
	s_cbranch_execz .LBB13_37
; %bb.32:
	s_mov_b32 s10, -1
	s_mov_b32 s9, exec_lo
	v_cmpx_nlt_f32_e32 v38, v22
	s_cbranch_execz .LBB13_36
; %bb.33:
	s_mov_b32 s10, 0
	s_mov_b32 s11, exec_lo
	v_cmpx_eq_f32_e32 v38, v22
; %bb.34:
	v_cmp_lt_f32_e64 s7, v32, v23
	s_and_b32 s10, s7, exec_lo
; %bb.35:
	s_or_b32 exec_lo, exec_lo, s11
	s_delay_alu instid0(SALU_CYCLE_1)
	s_or_not1_b32 s10, s10, exec_lo
.LBB13_36:
	s_or_b32 exec_lo, exec_lo, s9
	v_dual_cndmask_b32 v38, v38, v22, s10 :: v_dual_cndmask_b32 v32, v32, v23, s10
	v_dual_mov_b32 v21, v22 :: v_dual_mov_b32 v14, v23
.LBB13_37:
	s_or_b32 exec_lo, exec_lo, s8
	s_delay_alu instid0(VALU_DEP_2)
	v_dual_mov_b32 v15, v38 :: v_dual_mov_b32 v22, v32
	s_mov_b32 s8, exec_lo
	v_cmpx_lt_i32_e64 v37, v44
	s_cbranch_execz .LBB13_43
; %bb.38:
	s_mov_b32 s10, -1
	s_mov_b32 s9, exec_lo
	v_cmpx_nlt_f32_e32 v38, v16
	s_cbranch_execz .LBB13_42
; %bb.39:
	s_mov_b32 s10, 0
	s_mov_b32 s11, exec_lo
	v_cmpx_eq_f32_e32 v38, v16
; %bb.40:
	v_cmp_lt_f32_e64 s7, v32, v17
	s_and_b32 s10, s7, exec_lo
; %bb.41:
	s_or_b32 exec_lo, exec_lo, s11
	s_delay_alu instid0(SALU_CYCLE_1)
	s_or_not1_b32 s10, s10, exec_lo
.LBB13_42:
	s_or_b32 exec_lo, exec_lo, s9
	v_dual_cndmask_b32 v38, v38, v16, s10 :: v_dual_cndmask_b32 v32, v32, v17, s10
	v_dual_mov_b32 v15, v16 :: v_dual_mov_b32 v22, v17
.LBB13_43:
	s_or_b32 exec_lo, exec_lo, s8
	s_delay_alu instid0(VALU_DEP_2)
	v_dual_mov_b32 v23, v38 :: v_dual_mov_b32 v16, v32
	s_mov_b32 s8, exec_lo
	v_cmpx_lt_i32_e64 v35, v44
	;; [unrolled: 27-line block ×4, first 2 shown]
	s_cbranch_execz .LBB13_61
; %bb.56:
	s_mov_b32 s10, -1
	s_mov_b32 s9, exec_lo
	v_cmpx_nlt_f32_e32 v38, v28
	s_cbranch_execz .LBB13_60
; %bb.57:
	s_mov_b32 s10, 0
	s_mov_b32 s11, exec_lo
	v_cmpx_eq_f32_e32 v38, v28
; %bb.58:
	v_cmp_lt_f32_e64 s7, v32, v29
	s_and_b32 s10, s7, exec_lo
; %bb.59:
	s_or_b32 exec_lo, exec_lo, s11
	s_delay_alu instid0(SALU_CYCLE_1)
	s_or_not1_b32 s10, s10, exec_lo
.LBB13_60:
	s_or_b32 exec_lo, exec_lo, s9
	v_dual_cndmask_b32 v38, v38, v28, s10 :: v_dual_cndmask_b32 v32, v32, v29, s10
	v_dual_mov_b32 v19, v28 :: v_dual_mov_b32 v24, v29
.LBB13_61:
	s_or_b32 exec_lo, exec_lo, s8
	v_cmp_lt_i32_e64 s7, v20, v44
	v_cmp_ge_i32_e64 s8, v45, v44
                                        ; implicit-def: $vgpr28_vgpr29
	s_delay_alu instid0(VALU_DEP_2) | instskip(SKIP_1) | instid1(SALU_CYCLE_1)
	v_cndmask_b32_e64 v25, v38, v26, s7
	s_and_saveexec_b32 s9, s8
	s_xor_b32 s8, exec_lo, s9
; %bb.62:
	v_dual_mov_b32 v28, v9 :: v_dual_mov_b32 v29, v30
	v_mov_b32_e32 v20, v31
                                        ; implicit-def: $vgpr30_vgpr31
; %bb.63:
	s_or_saveexec_b32 s10, s8
	v_cndmask_b32_e64 v37, v32, v27, s7
	s_xor_b32 exec_lo, exec_lo, s10
	s_cbranch_execz .LBB13_167
; %bb.64:
	v_cmp_eq_f32_e64 s7, v30, v8
	v_cmp_lt_f32_e64 s8, v31, v9
	v_cmp_lt_f32_e64 s9, v30, v8
	v_dual_mov_b32 v20, v31 :: v_dual_mov_b32 v29, v30
	v_mov_b32_e32 v26, v5
	s_and_b32 s7, s7, s8
	s_delay_alu instid0(SALU_CYCLE_1) | instskip(NEXT) | instid1(SALU_CYCLE_1)
	s_or_b32 s8, s9, s7
	s_and_saveexec_b32 s7, s8
; %bb.65:
	v_dual_mov_b32 v20, v9 :: v_dual_mov_b32 v29, v8
	v_mov_b64_e32 v[8:9], v[30:31]
	v_dual_mov_b32 v26, v4 :: v_dual_mov_b32 v4, v5
; %bb.66:
	s_or_b32 exec_lo, exec_lo, s7
	v_cmp_lt_f32_e64 s9, v15, v21
	s_mov_b32 s11, exec_lo
	v_cmpx_nlt_f32_e32 v15, v21
; %bb.67:
	v_cmp_eq_f32_e64 s7, v15, v21
	v_cmp_lt_f32_e64 s8, v22, v14
	s_and_b32 s7, s7, s8
	s_and_not1_b32 s8, s9, exec_lo
	s_and_b32 s7, s7, exec_lo
	s_delay_alu instid0(SALU_CYCLE_1)
	s_or_b32 s9, s8, s7
; %bb.68:
	s_or_b32 exec_lo, exec_lo, s11
	v_dual_mov_b32 v5, v22 :: v_dual_mov_b32 v30, v15
	v_mov_b32_e32 v39, v7
	s_and_saveexec_b32 s7, s9
; %bb.69:
	v_dual_mov_b32 v5, v14 :: v_dual_mov_b32 v30, v21
	v_dual_mov_b32 v14, v22 :: v_dual_mov_b32 v21, v15
	v_dual_mov_b32 v39, v6 :: v_dual_mov_b32 v6, v7
; %bb.70:
	s_or_b32 exec_lo, exec_lo, s7
	v_cmp_lt_f32_e64 s9, v17, v23
	s_mov_b32 s11, exec_lo
	v_cmpx_nlt_f32_e32 v17, v23
; %bb.71:
	v_cmp_eq_f32_e64 s7, v17, v23
	v_cmp_lt_f32_e64 s8, v18, v16
	s_and_b32 s7, s7, s8
	s_and_not1_b32 s8, s9, exec_lo
	s_and_b32 s7, s7, exec_lo
	s_delay_alu instid0(SALU_CYCLE_1)
	s_or_b32 s9, s8, s7
; %bb.72:
	s_or_b32 exec_lo, exec_lo, s11
	v_dual_mov_b32 v7, v18 :: v_dual_mov_b32 v32, v17
	v_mov_b32_e32 v40, v11
	s_and_saveexec_b32 s7, s9
; %bb.73:
	v_dual_mov_b32 v7, v16 :: v_dual_mov_b32 v32, v23
	v_dual_mov_b32 v16, v18 :: v_dual_mov_b32 v23, v17
	;; [unrolled: 22-line block ×3, first 2 shown]
	v_dual_mov_b32 v38, v12 :: v_dual_mov_b32 v12, v13
; %bb.78:
	s_or_b32 exec_lo, exec_lo, s7
	s_mov_b32 s8, -1
	s_mov_b32 s9, exec_lo
	v_cmpx_nlt_f32_e32 v21, v29
	s_xor_b32 s9, exec_lo, s9
; %bb.79:
	v_cmp_eq_f32_e64 s7, v21, v29
	v_cmp_lt_f32_e64 s8, v14, v20
	s_and_b32 s7, s7, s8
	s_delay_alu instid0(SALU_CYCLE_1)
	s_or_not1_b32 s8, s7, exec_lo
; %bb.80:
	s_or_b32 exec_lo, exec_lo, s9
	v_dual_mov_b32 v17, v14 :: v_dual_mov_b32 v27, v21
	v_mov_b32_e32 v33, v6
	s_and_saveexec_b32 s7, s8
; %bb.81:
	v_dual_mov_b32 v17, v20 :: v_dual_mov_b32 v27, v29
	v_dual_mov_b32 v20, v14 :: v_dual_mov_b32 v29, v21
	;; [unrolled: 1-line block ×3, first 2 shown]
; %bb.82:
	s_or_b32 exec_lo, exec_lo, s7
	v_cmp_lt_f32_e64 s9, v23, v30
	s_mov_b32 s11, exec_lo
	v_cmpx_nlt_f32_e32 v23, v30
; %bb.83:
	v_cmp_eq_f32_e64 s7, v23, v30
	v_cmp_lt_f32_e64 s8, v16, v5
	s_and_b32 s7, s7, s8
	s_and_not1_b32 s8, s9, exec_lo
	s_and_b32 s7, s7, exec_lo
	s_delay_alu instid0(SALU_CYCLE_1)
	s_or_b32 s9, s8, s7
; %bb.84:
	s_or_b32 exec_lo, exec_lo, s11
	v_dual_mov_b32 v18, v16 :: v_dual_mov_b32 v28, v23
	v_mov_b32_e32 v34, v10
	s_and_saveexec_b32 s7, s9
; %bb.85:
	v_dual_mov_b32 v18, v5 :: v_dual_mov_b32 v28, v30
	v_dual_mov_b32 v5, v16 :: v_dual_mov_b32 v30, v23
	;; [unrolled: 1-line block ×3, first 2 shown]
; %bb.86:
	s_or_b32 exec_lo, exec_lo, s7
	v_cmp_lt_f32_e64 s9, v19, v32
	s_mov_b32 s11, exec_lo
	v_cmpx_nlt_f32_e32 v19, v32
; %bb.87:
	v_cmp_eq_f32_e64 s7, v19, v32
	v_cmp_lt_f32_e64 s8, v24, v7
	s_and_b32 s7, s7, s8
	s_and_not1_b32 s8, s9, exec_lo
	s_and_b32 s7, s7, exec_lo
	s_delay_alu instid0(SALU_CYCLE_1)
	s_or_b32 s9, s8, s7
; %bb.88:
	s_or_b32 exec_lo, exec_lo, s11
	v_dual_mov_b32 v25, v24 :: v_dual_mov_b32 v31, v19
	v_mov_b32_e32 v35, v12
	s_and_saveexec_b32 s7, s9
; %bb.89:
	v_dual_mov_b32 v25, v7 :: v_dual_mov_b32 v31, v32
	v_dual_mov_b32 v7, v24 :: v_dual_mov_b32 v32, v19
	;; [unrolled: 1-line block ×3, first 2 shown]
; %bb.90:
	s_or_b32 exec_lo, exec_lo, s7
	v_cmp_eq_f32_e64 s7, v29, v8
	v_cmp_lt_f32_e64 s8, v20, v9
	v_cmp_lt_f32_e64 s9, v29, v8
	v_dual_mov_b32 v6, v20 :: v_dual_mov_b32 v10, v29
	v_mov_b32_e32 v19, v26
	s_and_b32 s7, s7, s8
	s_delay_alu instid0(SALU_CYCLE_1) | instskip(NEXT) | instid1(SALU_CYCLE_1)
	s_or_b32 s8, s9, s7
	s_and_saveexec_b32 s7, s8
; %bb.91:
	v_dual_mov_b32 v6, v9 :: v_dual_mov_b32 v10, v8
	v_dual_mov_b32 v9, v20 :: v_dual_mov_b32 v8, v29
	v_dual_mov_b32 v19, v4 :: v_dual_mov_b32 v4, v26
; %bb.92:
	s_or_b32 exec_lo, exec_lo, s7
	v_cmp_lt_f32_e64 s9, v30, v27
	s_mov_b32 s11, exec_lo
	v_cmpx_nlt_f32_e32 v30, v27
; %bb.93:
	v_cmp_eq_f32_e64 s7, v30, v27
	v_cmp_lt_f32_e64 s8, v5, v17
	s_and_b32 s7, s7, s8
	s_and_not1_b32 s8, s9, exec_lo
	s_and_b32 s7, s7, exec_lo
	s_delay_alu instid0(SALU_CYCLE_1)
	s_or_b32 s9, s8, s7
; %bb.94:
	s_or_b32 exec_lo, exec_lo, s11
	v_dual_mov_b32 v11, v5 :: v_dual_mov_b32 v14, v30
	v_mov_b32_e32 v20, v39
	s_and_saveexec_b32 s7, s9
; %bb.95:
	v_dual_mov_b32 v11, v17 :: v_dual_mov_b32 v14, v27
	v_dual_mov_b32 v17, v5 :: v_dual_mov_b32 v27, v30
	v_dual_mov_b32 v20, v33 :: v_dual_mov_b32 v33, v39
; %bb.96:
	s_or_b32 exec_lo, exec_lo, s7
	v_cmp_lt_f32_e64 s9, v32, v28
	s_mov_b32 s11, exec_lo
	v_cmpx_nlt_f32_e32 v32, v28
; %bb.97:
	v_cmp_eq_f32_e64 s7, v32, v28
	v_cmp_lt_f32_e64 s8, v7, v18
	s_and_b32 s7, s7, s8
	s_and_not1_b32 s8, s9, exec_lo
	s_and_b32 s7, s7, exec_lo
	s_delay_alu instid0(SALU_CYCLE_1)
	s_or_b32 s9, s8, s7
; %bb.98:
	s_or_b32 exec_lo, exec_lo, s11
	v_dual_mov_b32 v12, v7 :: v_dual_mov_b32 v16, v32
	v_mov_b32_e32 v26, v40
	;; [unrolled: 22-line block ×16, first 2 shown]
	s_and_saveexec_b32 s7, s9
; %bb.155:
	v_dual_mov_b32 v18, v16 :: v_dual_mov_b32 v28, v33
	v_dual_mov_b32 v16, v19 :: v_dual_mov_b32 v33, v34
	;; [unrolled: 1-line block ×3, first 2 shown]
; %bb.156:
	s_or_b32 exec_lo, exec_lo, s7
	v_cmp_eq_f32_e64 s8, v31, v21
	v_cmp_lt_f32_e64 s9, v20, v30
	v_cmp_lt_f32_e64 s7, v31, v21
	v_mov_b64_e32 v[12:13], v[26:27]
	v_mov_b64_e32 v[24:25], v[30:31]
	;; [unrolled: 1-line block ×3, first 2 shown]
	v_dual_mov_b32 v37, v20 :: v_dual_mov_b32 v19, v21
	v_mov_b32_e32 v38, v26
	s_and_b32 s8, s8, s9
	s_delay_alu instid0(SALU_CYCLE_1) | instskip(NEXT) | instid1(SALU_CYCLE_1)
	s_or_b32 s8, s7, s8
	s_and_saveexec_b32 s7, s8
	s_cbranch_execz .LBB13_158
; %bb.157:
	v_mov_b64_e32 v[24:25], v[20:21]
	v_mov_b64_e32 v[34:35], v[20:21]
	v_dual_mov_b32 v12, v27 :: v_dual_mov_b32 v13, v26
	v_dual_mov_b32 v37, v30 :: v_dual_mov_b32 v19, v31
	v_dual_mov_b32 v38, v27 :: v_dual_mov_b32 v27, v26
	v_dual_mov_b32 v30, v20 :: v_dual_mov_b32 v31, v21
.LBB13_158:
	s_or_b32 exec_lo, exec_lo, s7
	v_cmp_eq_f32_e64 s7, v23, v29
	v_cmp_lt_f32_e64 s8, v14, v22
	v_cmp_lt_f32_e64 s9, v23, v29
	v_mov_b64_e32 v[20:21], v[22:23]
	v_mov_b32_e32 v6, v10
	s_and_b32 s7, s7, s8
	s_delay_alu instid0(SALU_CYCLE_1) | instskip(NEXT) | instid1(SALU_CYCLE_1)
	s_or_b32 s8, s9, s7
	s_and_saveexec_b32 s7, s8
; %bb.159:
	v_dual_mov_b32 v15, v29 :: v_dual_mov_b32 v29, v23
	v_dual_mov_b32 v6, v5 :: v_dual_mov_b32 v5, v10
	s_delay_alu instid0(VALU_DEP_2)
	v_mov_b64_e32 v[20:21], v[14:15]
	v_mov_b32_e32 v14, v22
; %bb.160:
	s_or_b32 exec_lo, exec_lo, s7
	v_cmp_eq_f32_e64 s7, v33, v17
	v_cmp_lt_f32_e64 s8, v16, v32
	v_cmp_lt_f32_e64 s9, v33, v17
	v_mov_b64_e32 v[22:23], v[32:33]
	s_and_b32 s7, s7, s8
	s_delay_alu instid0(SALU_CYCLE_1) | instskip(NEXT) | instid1(SALU_CYCLE_1)
	s_or_b32 s7, s9, s7
	s_and_saveexec_b32 s8, s7
	s_delay_alu instid0(SALU_CYCLE_1)
	s_xor_b32 s7, exec_lo, s8
; %bb.161:
	v_mov_b64_e32 v[22:23], v[16:17]
	v_mov_b64_e32 v[16:17], v[32:33]
; %bb.162:
	s_or_saveexec_b32 s7, s7
	v_mov_b32_e32 v10, v39
	s_xor_b32 exec_lo, exec_lo, s7
; %bb.163:
	s_delay_alu instid0(VALU_DEP_2)
	v_dual_mov_b32 v33, v17 :: v_dual_mov_b32 v10, v7
	v_mov_b32_e32 v7, v39
; %bb.164:
	s_or_b32 exec_lo, exec_lo, s7
	v_cmp_eq_f32_e64 s7, v19, v28
	v_cmp_lt_f32_e64 s8, v30, v18
	v_cmp_lt_f32_e64 s9, v19, v28
	v_mov_b32_e32 v17, v28
	s_and_b32 s7, s7, s8
	s_delay_alu instid0(SALU_CYCLE_1) | instskip(NEXT) | instid1(SALU_CYCLE_1)
	s_or_b32 s8, s9, s7
	s_and_saveexec_b32 s7, s8
	s_cbranch_execz .LBB13_166
; %bb.165:
	v_dual_mov_b32 v17, v19 :: v_dual_mov_b32 v19, v31
	v_dual_mov_b32 v35, v28 :: v_dual_mov_b32 v26, v11
	v_mov_b32_e32 v11, v38
	s_delay_alu instid0(VALU_DEP_3) | instskip(NEXT) | instid1(VALU_DEP_3)
	v_mov_b64_e32 v[24:25], v[18:19]
	v_mov_b64_e32 v[18:19], v[34:35]
	s_delay_alu instid0(VALU_DEP_4)
	v_mov_b64_e32 v[12:13], v[26:27]
.LBB13_166:
	s_or_b32 exec_lo, exec_lo, s7
	v_dual_mov_b32 v28, v9 :: v_dual_mov_b32 v15, v33
.LBB13_167:
	s_or_b32 exec_lo, exec_lo, s10
	v_and_b32_e32 v9, 0xf0, v45
	v_dual_lshlrev_b32 v27, 3, v45 :: v_dual_bitop2_b32 v26, 8, v45 bitop3:0x40
	; wave barrier
	s_delay_alu instid0(VALU_DEP_2) | instskip(SKIP_1) | instid1(VALU_DEP_3)
	v_min_i32_e32 v9, v44, v9
	v_mul_u32_u24_e32 v46, 0x808, v36
	v_mad_u32_u24 v48, 0x808, v36, v27
	s_mov_b32 s9, 0
	s_mov_b32 s8, exec_lo
	v_add_min_i32_e64 v47, v9, 8, v44
	ds_store_2addr_b32 v48, v28, v29 offset0:1 offset1:2
	ds_store_2addr_b32 v48, v20, v21 offset0:3 offset1:4
	;; [unrolled: 1-line block ×7, first 2 shown]
	ds_store_2addr_b32 v48, v8, v37 offset1:15
	v_add_min_i32_e64 v49, v47, 8, v44
	; wave barrier
	s_delay_alu instid0(VALU_DEP_1) | instskip(SKIP_1) | instid1(VALU_DEP_2)
	v_dual_sub_nc_u32 v30, v49, v47 :: v_dual_min_i32 v26, v44, v26
	v_dual_sub_nc_u32 v27, v47, v9 :: v_dual_lshlrev_b32 v14, 3, v9
	v_sub_nc_u32_e32 v31, v26, v30
	v_cmp_ge_i32_e64 s7, v26, v30
	s_delay_alu instid0(VALU_DEP_3) | instskip(NEXT) | instid1(VALU_DEP_4)
	v_min_i32_e32 v15, v26, v27
	v_mad_u32_u24 v14, 0x808, v36, v14
	s_delay_alu instid0(VALU_DEP_3) | instskip(NEXT) | instid1(VALU_DEP_1)
	v_cndmask_b32_e64 v20, 0, v31, s7
	v_cmpx_lt_i32_e64 v20, v15
	s_cbranch_execz .LBB13_182
; %bb.168:
	v_dual_lshlrev_b32 v8, 3, v47 :: v_dual_lshlrev_b32 v16, 3, v26
                                        ; implicit-def: $sgpr10
	s_delay_alu instid0(VALU_DEP_1)
	v_add3_u32 v8, v46, v8, v16
	s_branch .LBB13_171
.LBB13_169:                             ;   in Loop: Header=BB13_171 Depth=1
	s_or_b32 exec_lo, exec_lo, s13
	s_delay_alu instid0(SALU_CYCLE_1) | instskip(SKIP_1) | instid1(SALU_CYCLE_1)
	s_and_not1_b32 s7, s10, exec_lo
	s_and_b32 s10, s12, exec_lo
	s_or_b32 s10, s7, s10
.LBB13_170:                             ;   in Loop: Header=BB13_171 Depth=1
	s_or_b32 exec_lo, exec_lo, s11
	v_dual_add_nc_u32 v17, 1, v16 :: v_dual_cndmask_b32 v15, v15, v16, s10
	s_delay_alu instid0(VALU_DEP_1) | instskip(NEXT) | instid1(VALU_DEP_1)
	v_cndmask_b32_e64 v20, v17, v20, s10
	v_cmp_ge_i32_e64 s7, v20, v15
	s_or_b32 s9, s7, s9
	s_delay_alu instid0(SALU_CYCLE_1)
	s_and_not1_b32 exec_lo, exec_lo, s9
	s_cbranch_execz .LBB13_181
.LBB13_171:                             ; =>This Inner Loop Header: Depth=1
	v_sub_nc_u32_e32 v16, v15, v20
	s_or_b32 s10, s10, exec_lo
	s_mov_b32 s11, exec_lo
	s_delay_alu instid0(VALU_DEP_1) | instskip(NEXT) | instid1(VALU_DEP_1)
	v_lshrrev_b32_e32 v16, 1, v16
	v_add_nc_u32_e32 v16, v16, v20
	s_delay_alu instid0(VALU_DEP_1) | instskip(SKIP_1) | instid1(VALU_DEP_2)
	v_not_b32_e32 v18, v16
	v_lshl_add_u32 v17, v16, 3, v14
	v_lshl_add_u32 v18, v18, 3, v8
	ds_load_b32 v19, v17
	ds_load_b32 v21, v18
	s_wait_dscnt 0x0
	v_cmpx_nlt_f32_e32 v21, v19
	s_cbranch_execz .LBB13_170
; %bb.172:                              ;   in Loop: Header=BB13_171 Depth=1
	s_mov_b32 s12, 0
	s_mov_b32 s13, exec_lo
	v_cmpx_eq_f32_e32 v21, v19
	s_cbranch_execz .LBB13_169
; %bb.173:                              ;   in Loop: Header=BB13_171 Depth=1
	ds_load_b32 v18, v18 offset:4
	ds_load_b32 v17, v17 offset:4
	s_wait_dscnt 0x0
	v_cmp_lt_f32_e64 s7, v18, v17
	s_and_b32 s12, s7, exec_lo
	s_branch .LBB13_169
.LBB13_174:
	global_load_b32 v4, v[2:3], off
	s_wait_xcnt 0x0
	s_or_b32 exec_lo, exec_lo, s7
	s_and_saveexec_b32 s7, s0
	s_cbranch_execz .LBB13_18
.LBB13_175:
	global_load_b32 v5, v[2:3], off offset:4
	s_wait_xcnt 0x0
	s_or_b32 exec_lo, exec_lo, s7
	s_and_saveexec_b32 s7, s1
                                        ; implicit-def: $vgpr6_vgpr7
	s_cbranch_execz .LBB13_19
.LBB13_176:
	global_load_b32 v6, v[2:3], off offset:8
	s_wait_xcnt 0x0
	s_or_b32 exec_lo, exec_lo, s7
	s_and_saveexec_b32 s7, s2
	s_cbranch_execz .LBB13_20
.LBB13_177:
	global_load_b32 v7, v[2:3], off offset:12
	s_wait_xcnt 0x0
	s_or_b32 exec_lo, exec_lo, s7
                                        ; implicit-def: $vgpr10
	s_and_saveexec_b32 s7, s3
	s_cbranch_execz .LBB13_21
.LBB13_178:
	global_load_b32 v10, v[2:3], off offset:16
	s_wait_xcnt 0x0
	s_or_b32 exec_lo, exec_lo, s7
	s_and_saveexec_b32 s7, s4
	s_cbranch_execz .LBB13_22
.LBB13_179:
	global_load_b32 v11, v[2:3], off offset:20
	s_wait_xcnt 0x0
	s_or_b32 exec_lo, exec_lo, s7
	s_and_saveexec_b32 s7, s5
                                        ; implicit-def: $vgpr12_vgpr13
	s_cbranch_execz .LBB13_23
.LBB13_180:
	global_load_b32 v12, v[2:3], off offset:24
	s_wait_xcnt 0x0
	s_or_b32 exec_lo, exec_lo, s7
	s_and_saveexec_b32 s7, s6
	s_cbranch_execnz .LBB13_24
	s_branch .LBB13_25
.LBB13_181:
	s_or_b32 exec_lo, exec_lo, s9
.LBB13_182:
	s_delay_alu instid0(SALU_CYCLE_1) | instskip(SKIP_2) | instid1(VALU_DEP_2)
	s_or_b32 exec_lo, exec_lo, s8
	v_add_nc_u32_e32 v8, v47, v26
	v_lshl_add_u32 v18, v20, 3, v14
	v_sub_nc_u32_e32 v50, v8, v20
	s_delay_alu instid0(VALU_DEP_1) | instskip(SKIP_4) | instid1(SALU_CYCLE_1)
	v_lshl_add_u32 v21, v50, 3, v46
	v_cmp_le_i32_e64 s7, v49, v50
	ds_load_b64 v[14:15], v18
	ds_load_b64 v[16:17], v21
	s_and_saveexec_b32 s8, s7
	s_xor_b32 s7, exec_lo, s8
	s_delay_alu instid0(SALU_CYCLE_1)
	s_or_saveexec_b32 s10, s7
	v_add_nc_u32_e32 v51, v20, v9
	s_mov_b32 s9, 0
	s_xor_b32 exec_lo, exec_lo, s10
	s_cbranch_execz .LBB13_188
; %bb.183:
	s_delay_alu instid0(VALU_DEP_1)
	v_cmp_gt_i32_e64 s7, v47, v51
	s_wait_dscnt 0x0
	v_cmp_nlt_f32_e64 s8, v16, v14
	s_and_b32 s9, s7, s8
	s_mov_b32 s7, -1
	s_and_saveexec_b32 s8, s9
	s_cbranch_execz .LBB13_187
; %bb.184:
	s_mov_b32 s9, 0
	s_mov_b32 s11, exec_lo
	v_cmpx_eq_f32_e32 v16, v14
; %bb.185:
	v_cmp_lt_f32_e64 s7, v17, v15
	s_and_b32 s9, s7, exec_lo
; %bb.186:
	s_or_b32 exec_lo, exec_lo, s11
	s_delay_alu instid0(SALU_CYCLE_1)
	s_or_not1_b32 s7, s9, exec_lo
.LBB13_187:
	s_or_b32 exec_lo, exec_lo, s8
	s_delay_alu instid0(SALU_CYCLE_1)
	s_and_b32 s9, s7, exec_lo
.LBB13_188:
	s_or_b32 exec_lo, exec_lo, s10
	s_xor_b32 s7, s9, -1
                                        ; implicit-def: $vgpr8_vgpr9
	s_delay_alu instid0(SALU_CYCLE_1) | instskip(NEXT) | instid1(SALU_CYCLE_1)
	s_and_saveexec_b32 s8, s7
	s_xor_b32 s7, exec_lo, s8
; %bb.189:
	ds_load_b64 v[8:9], v18 offset:8
                                        ; implicit-def: $vgpr21
; %bb.190:
	s_or_saveexec_b32 s7, s7
	s_wait_dscnt 0x0
	v_mov_b64_e32 v[18:19], v[16:17]
	s_xor_b32 exec_lo, exec_lo, s7
; %bb.191:
	ds_load_b64 v[18:19], v21 offset:8
	v_mov_b64_e32 v[8:9], v[14:15]
; %bb.192:
	s_or_b32 exec_lo, exec_lo, s7
	v_dual_add_nc_u32 v20, 1, v50 :: v_dual_add_nc_u32 v21, 1, v51
	s_mov_b32 s10, 0
	s_mov_b32 s11, exec_lo
	s_delay_alu instid0(VALU_DEP_1) | instskip(NEXT) | instid1(VALU_DEP_1)
	v_dual_cndmask_b32 v52, v50, v20, s9 :: v_dual_cndmask_b32 v53, v21, v51, s9
	v_cmpx_lt_i32_e64 v52, v49
	s_cbranch_execz .LBB13_198
; %bb.193:
	s_delay_alu instid0(VALU_DEP_2)
	v_cmp_lt_i32_e64 s7, v53, v47
	s_wait_dscnt 0x0
	v_cmp_nlt_f32_e64 s8, v18, v8
	s_and_b32 s10, s7, s8
	s_mov_b32 s7, -1
	s_and_saveexec_b32 s8, s10
	s_cbranch_execz .LBB13_197
; %bb.194:
	s_mov_b32 s10, 0
	s_mov_b32 s12, exec_lo
	v_cmpx_eq_f32_e32 v18, v8
; %bb.195:
	v_cmp_lt_f32_e64 s7, v19, v9
	s_and_b32 s10, s7, exec_lo
; %bb.196:
	s_or_b32 exec_lo, exec_lo, s12
	s_delay_alu instid0(SALU_CYCLE_1)
	s_or_not1_b32 s7, s10, exec_lo
.LBB13_197:
	s_or_b32 exec_lo, exec_lo, s8
	s_delay_alu instid0(SALU_CYCLE_1)
	s_and_b32 s10, s7, exec_lo
.LBB13_198:
	s_or_b32 exec_lo, exec_lo, s11
	s_xor_b32 s7, s10, -1
                                        ; implicit-def: $vgpr20_vgpr21
	s_delay_alu instid0(SALU_CYCLE_1) | instskip(NEXT) | instid1(SALU_CYCLE_1)
	s_and_saveexec_b32 s8, s7
	s_xor_b32 s7, exec_lo, s8
; %bb.199:
	v_lshl_add_u32 v20, v53, 3, v46
	ds_load_b64 v[20:21], v20 offset:8
; %bb.200:
	s_or_saveexec_b32 s7, s7
	s_wait_dscnt 0x0
	v_mov_b64_e32 v[22:23], v[18:19]
	s_xor_b32 exec_lo, exec_lo, s7
; %bb.201:
	v_lshl_add_u32 v20, v52, 3, v46
	ds_load_b64 v[22:23], v20 offset:8
	v_mov_b64_e32 v[20:21], v[8:9]
; %bb.202:
	s_or_b32 exec_lo, exec_lo, s7
	v_add_nc_u32_e32 v24, 1, v52
	s_delay_alu instid0(VALU_DEP_1) | instskip(NEXT) | instid1(VALU_DEP_1)
	v_dual_cndmask_b32 v54, v52, v24, s10 :: v_dual_add_nc_u32 v24, 1, v53
	v_cmp_ge_i32_e64 s7, v54, v49
	s_and_saveexec_b32 s8, s7
	s_delay_alu instid0(SALU_CYCLE_1) | instskip(NEXT) | instid1(SALU_CYCLE_1)
	s_xor_b32 s7, exec_lo, s8
	s_or_saveexec_b32 s12, s7
	v_cndmask_b32_e64 v55, v24, v53, s10
	s_mov_b32 s11, 0
	s_xor_b32 exec_lo, exec_lo, s12
	s_cbranch_execz .LBB13_208
; %bb.203:
	s_delay_alu instid0(VALU_DEP_1)
	v_cmp_lt_i32_e64 s7, v55, v47
	s_wait_dscnt 0x0
	v_cmp_nlt_f32_e64 s8, v22, v20
	s_and_b32 s11, s7, s8
	s_mov_b32 s7, -1
	s_and_saveexec_b32 s8, s11
	s_cbranch_execz .LBB13_207
; %bb.204:
	s_mov_b32 s11, 0
	s_mov_b32 s13, exec_lo
	v_cmpx_eq_f32_e32 v22, v20
; %bb.205:
	v_cmp_lt_f32_e64 s7, v23, v21
	s_and_b32 s11, s7, exec_lo
; %bb.206:
	s_or_b32 exec_lo, exec_lo, s13
	s_delay_alu instid0(SALU_CYCLE_1)
	s_or_not1_b32 s7, s11, exec_lo
.LBB13_207:
	s_or_b32 exec_lo, exec_lo, s8
	s_delay_alu instid0(SALU_CYCLE_1)
	s_and_b32 s11, s7, exec_lo
.LBB13_208:
	s_or_b32 exec_lo, exec_lo, s12
	s_xor_b32 s7, s11, -1
                                        ; implicit-def: $vgpr24_vgpr25
	s_delay_alu instid0(SALU_CYCLE_1) | instskip(NEXT) | instid1(SALU_CYCLE_1)
	s_and_saveexec_b32 s8, s7
	s_xor_b32 s7, exec_lo, s8
; %bb.209:
	v_lshl_add_u32 v24, v55, 3, v46
	ds_load_b64 v[24:25], v24 offset:8
; %bb.210:
	s_or_saveexec_b32 s7, s7
	s_wait_dscnt 0x0
	v_mov_b64_e32 v[26:27], v[22:23]
	s_xor_b32 exec_lo, exec_lo, s7
; %bb.211:
	v_lshl_add_u32 v24, v54, 3, v46
	ds_load_b64 v[26:27], v24 offset:8
	v_mov_b64_e32 v[24:25], v[20:21]
; %bb.212:
	s_or_b32 exec_lo, exec_lo, s7
	v_dual_add_nc_u32 v28, 1, v54 :: v_dual_add_nc_u32 v29, 1, v55
	s_mov_b32 s12, 0
	s_mov_b32 s13, exec_lo
	s_delay_alu instid0(VALU_DEP_1) | instskip(NEXT) | instid1(VALU_DEP_1)
	v_dual_cndmask_b32 v56, v54, v28, s11 :: v_dual_cndmask_b32 v57, v29, v55, s11
	v_cmpx_lt_i32_e64 v56, v49
	s_cbranch_execz .LBB13_218
; %bb.213:
	s_delay_alu instid0(VALU_DEP_2)
	v_cmp_lt_i32_e64 s7, v57, v47
	s_wait_dscnt 0x0
	v_cmp_nlt_f32_e64 s8, v26, v24
	s_and_b32 s12, s7, s8
	s_mov_b32 s7, -1
	s_and_saveexec_b32 s8, s12
	s_cbranch_execz .LBB13_217
; %bb.214:
	s_mov_b32 s12, 0
	s_mov_b32 s14, exec_lo
	v_cmpx_eq_f32_e32 v26, v24
; %bb.215:
	v_cmp_lt_f32_e64 s7, v27, v25
	s_and_b32 s12, s7, exec_lo
; %bb.216:
	s_or_b32 exec_lo, exec_lo, s14
	s_delay_alu instid0(SALU_CYCLE_1)
	s_or_not1_b32 s7, s12, exec_lo
.LBB13_217:
	s_or_b32 exec_lo, exec_lo, s8
	s_delay_alu instid0(SALU_CYCLE_1)
	s_and_b32 s12, s7, exec_lo
.LBB13_218:
	s_or_b32 exec_lo, exec_lo, s13
	s_xor_b32 s7, s12, -1
                                        ; implicit-def: $vgpr28_vgpr29
	s_delay_alu instid0(SALU_CYCLE_1) | instskip(NEXT) | instid1(SALU_CYCLE_1)
	s_and_saveexec_b32 s8, s7
	s_xor_b32 s7, exec_lo, s8
; %bb.219:
	v_lshl_add_u32 v28, v57, 3, v46
	ds_load_b64 v[28:29], v28 offset:8
; %bb.220:
	s_or_saveexec_b32 s7, s7
	s_wait_dscnt 0x0
	v_mov_b64_e32 v[30:31], v[26:27]
	s_xor_b32 exec_lo, exec_lo, s7
; %bb.221:
	v_lshl_add_u32 v28, v56, 3, v46
	ds_load_b64 v[30:31], v28 offset:8
	v_mov_b64_e32 v[28:29], v[24:25]
; %bb.222:
	s_or_b32 exec_lo, exec_lo, s7
	v_add_nc_u32_e32 v32, 1, v56
	s_delay_alu instid0(VALU_DEP_1) | instskip(NEXT) | instid1(VALU_DEP_1)
	v_dual_cndmask_b32 v58, v56, v32, s12 :: v_dual_add_nc_u32 v32, 1, v57
	v_cmp_ge_i32_e64 s7, v58, v49
	s_and_saveexec_b32 s8, s7
	s_delay_alu instid0(SALU_CYCLE_1) | instskip(NEXT) | instid1(SALU_CYCLE_1)
	s_xor_b32 s7, exec_lo, s8
	s_or_saveexec_b32 s14, s7
	v_cndmask_b32_e64 v59, v32, v57, s12
	s_mov_b32 s13, 0
	s_xor_b32 exec_lo, exec_lo, s14
	s_cbranch_execz .LBB13_228
; %bb.223:
	s_delay_alu instid0(VALU_DEP_1)
	v_cmp_lt_i32_e64 s7, v59, v47
	s_wait_dscnt 0x0
	v_cmp_nlt_f32_e64 s8, v30, v28
	s_and_b32 s13, s7, s8
	s_mov_b32 s7, -1
	s_and_saveexec_b32 s8, s13
	s_cbranch_execz .LBB13_227
; %bb.224:
	s_mov_b32 s13, 0
	s_mov_b32 s15, exec_lo
	v_cmpx_eq_f32_e32 v30, v28
; %bb.225:
	v_cmp_lt_f32_e64 s7, v31, v29
	s_and_b32 s13, s7, exec_lo
; %bb.226:
	s_or_b32 exec_lo, exec_lo, s15
	s_delay_alu instid0(SALU_CYCLE_1)
	s_or_not1_b32 s7, s13, exec_lo
.LBB13_227:
	s_or_b32 exec_lo, exec_lo, s8
	s_delay_alu instid0(SALU_CYCLE_1)
	s_and_b32 s13, s7, exec_lo
.LBB13_228:
	s_or_b32 exec_lo, exec_lo, s14
	s_xor_b32 s7, s13, -1
                                        ; implicit-def: $vgpr32_vgpr33
	s_delay_alu instid0(SALU_CYCLE_1) | instskip(NEXT) | instid1(SALU_CYCLE_1)
	s_and_saveexec_b32 s8, s7
	s_xor_b32 s7, exec_lo, s8
; %bb.229:
	v_lshl_add_u32 v32, v59, 3, v46
	ds_load_b64 v[32:33], v32 offset:8
; %bb.230:
	s_or_saveexec_b32 s7, s7
	s_wait_dscnt 0x0
	v_mov_b64_e32 v[34:35], v[30:31]
	s_xor_b32 exec_lo, exec_lo, s7
; %bb.231:
	v_lshl_add_u32 v32, v58, 3, v46
	ds_load_b64 v[34:35], v32 offset:8
	v_mov_b64_e32 v[32:33], v[28:29]
; %bb.232:
	s_or_b32 exec_lo, exec_lo, s7
	v_dual_add_nc_u32 v36, 1, v58 :: v_dual_add_nc_u32 v37, 1, v59
	s_mov_b32 s14, 0
	s_mov_b32 s15, exec_lo
	s_delay_alu instid0(VALU_DEP_1) | instskip(NEXT) | instid1(VALU_DEP_1)
	v_dual_cndmask_b32 v60, v58, v36, s13 :: v_dual_cndmask_b32 v61, v37, v59, s13
	v_cmpx_lt_i32_e64 v60, v49
	s_cbranch_execz .LBB13_238
; %bb.233:
	s_delay_alu instid0(VALU_DEP_2)
	v_cmp_lt_i32_e64 s7, v61, v47
	s_wait_dscnt 0x0
	v_cmp_nlt_f32_e64 s8, v34, v32
	s_and_b32 s14, s7, s8
	s_mov_b32 s7, -1
	s_and_saveexec_b32 s8, s14
	s_cbranch_execz .LBB13_237
; %bb.234:
	s_mov_b32 s14, 0
	s_mov_b32 s16, exec_lo
	v_cmpx_eq_f32_e32 v34, v32
; %bb.235:
	v_cmp_lt_f32_e64 s7, v35, v33
	s_and_b32 s14, s7, exec_lo
; %bb.236:
	s_or_b32 exec_lo, exec_lo, s16
	s_delay_alu instid0(SALU_CYCLE_1)
	s_or_not1_b32 s7, s14, exec_lo
.LBB13_237:
	s_or_b32 exec_lo, exec_lo, s8
	s_delay_alu instid0(SALU_CYCLE_1)
	s_and_b32 s14, s7, exec_lo
.LBB13_238:
	s_or_b32 exec_lo, exec_lo, s15
	s_xor_b32 s7, s14, -1
                                        ; implicit-def: $vgpr40_vgpr41
	s_delay_alu instid0(SALU_CYCLE_1) | instskip(NEXT) | instid1(SALU_CYCLE_1)
	s_and_saveexec_b32 s8, s7
	s_xor_b32 s7, exec_lo, s8
; %bb.239:
	v_lshl_add_u32 v36, v61, 3, v46
	ds_load_b64 v[40:41], v36 offset:8
; %bb.240:
	s_or_saveexec_b32 s7, s7
	s_wait_dscnt 0x0
	v_mov_b64_e32 v[42:43], v[34:35]
	s_xor_b32 exec_lo, exec_lo, s7
; %bb.241:
	v_lshl_add_u32 v36, v60, 3, v46
	v_mov_b64_e32 v[40:41], v[32:33]
	ds_load_b64 v[42:43], v36 offset:8
; %bb.242:
	s_or_b32 exec_lo, exec_lo, s7
	v_add_nc_u32_e32 v36, 1, v60
	s_delay_alu instid0(VALU_DEP_1) | instskip(NEXT) | instid1(VALU_DEP_1)
	v_dual_cndmask_b32 v62, v60, v36, s14 :: v_dual_add_nc_u32 v36, 1, v61
	v_cmp_ge_i32_e64 s7, v62, v49
	s_and_saveexec_b32 s8, s7
	s_delay_alu instid0(SALU_CYCLE_1) | instskip(NEXT) | instid1(SALU_CYCLE_1)
	s_xor_b32 s7, exec_lo, s8
	s_or_saveexec_b32 s16, s7
	v_cndmask_b32_e64 v63, v36, v61, s14
	s_mov_b32 s15, 0
	s_xor_b32 exec_lo, exec_lo, s16
	s_cbranch_execz .LBB13_248
; %bb.243:
	s_delay_alu instid0(VALU_DEP_1)
	v_cmp_lt_i32_e64 s7, v63, v47
	s_wait_dscnt 0x0
	v_cmp_nlt_f32_e64 s8, v42, v40
	s_and_b32 s15, s7, s8
	s_mov_b32 s7, -1
	s_and_saveexec_b32 s8, s15
	s_cbranch_execz .LBB13_247
; %bb.244:
	s_mov_b32 s15, 0
	s_mov_b32 s17, exec_lo
	v_cmpx_eq_f32_e32 v42, v40
; %bb.245:
	v_cmp_lt_f32_e64 s7, v43, v41
	s_and_b32 s15, s7, exec_lo
; %bb.246:
	s_or_b32 exec_lo, exec_lo, s17
	s_delay_alu instid0(SALU_CYCLE_1)
	s_or_not1_b32 s7, s15, exec_lo
.LBB13_247:
	s_or_b32 exec_lo, exec_lo, s8
	s_delay_alu instid0(SALU_CYCLE_1)
	s_and_b32 s15, s7, exec_lo
.LBB13_248:
	s_or_b32 exec_lo, exec_lo, s16
	s_xor_b32 s7, s15, -1
                                        ; implicit-def: $vgpr36_vgpr37
	s_delay_alu instid0(SALU_CYCLE_1) | instskip(NEXT) | instid1(SALU_CYCLE_1)
	s_and_saveexec_b32 s8, s7
	s_xor_b32 s7, exec_lo, s8
; %bb.249:
	v_lshl_add_u32 v36, v63, 3, v46
	ds_load_b64 v[36:37], v36 offset:8
; %bb.250:
	s_or_saveexec_b32 s7, s7
	s_wait_dscnt 0x0
	v_mov_b64_e32 v[38:39], v[42:43]
	s_xor_b32 exec_lo, exec_lo, s7
; %bb.251:
	v_lshl_add_u32 v36, v62, 3, v46
	ds_load_b64 v[38:39], v36 offset:8
	v_mov_b64_e32 v[36:37], v[40:41]
; %bb.252:
	s_or_b32 exec_lo, exec_lo, s7
	v_dual_add_nc_u32 v64, 1, v62 :: v_dual_add_nc_u32 v65, 1, v63
	s_mov_b32 s8, 0
	s_mov_b32 s16, exec_lo
	s_delay_alu instid0(VALU_DEP_1) | instskip(NEXT) | instid1(VALU_DEP_1)
	v_dual_cndmask_b32 v64, v62, v64, s15 :: v_dual_cndmask_b32 v65, v65, v63, s15
	v_cmpx_lt_i32_e64 v64, v49
	s_cbranch_execz .LBB13_258
; %bb.253:
	s_delay_alu instid0(VALU_DEP_2)
	v_cmp_lt_i32_e64 s7, v65, v47
	s_wait_dscnt 0x0
	v_cmp_nlt_f32_e64 s8, v38, v36
	s_and_b32 s17, s7, s8
	s_mov_b32 s7, -1
	s_and_saveexec_b32 s8, s17
	s_cbranch_execz .LBB13_257
; %bb.254:
	s_mov_b32 s17, 0
	s_mov_b32 s18, exec_lo
	v_cmpx_eq_f32_e32 v38, v36
; %bb.255:
	v_cmp_lt_f32_e64 s7, v39, v37
	s_and_b32 s17, s7, exec_lo
; %bb.256:
	s_or_b32 exec_lo, exec_lo, s18
	s_delay_alu instid0(SALU_CYCLE_1)
	s_or_not1_b32 s7, s17, exec_lo
.LBB13_257:
	s_or_b32 exec_lo, exec_lo, s8
	s_delay_alu instid0(SALU_CYCLE_1)
	s_and_b32 s8, s7, exec_lo
.LBB13_258:
	s_or_b32 exec_lo, exec_lo, s16
	v_dual_cndmask_b32 v28, v28, v30, s13 :: v_dual_cndmask_b32 v29, v29, v31, s13
	v_dual_cndmask_b32 v30, v59, v58, s13 :: v_dual_cndmask_b32 v25, v25, v27, s12
	;; [unrolled: 1-line block ×5, first 2 shown]
	v_lshl_add_u32 v47, v45, 2, v46
	v_dual_cndmask_b32 v22, v8, v18, s10 :: v_dual_cndmask_b32 v8, v53, v52, s10
	v_and_b32_e32 v18, 0xe0, v45
	v_dual_cndmask_b32 v24, v24, v26, s12 :: v_dual_cndmask_b32 v26, v57, v56, s12
	v_dual_cndmask_b32 v40, v40, v42, s15 :: v_dual_cndmask_b32 v41, v41, v43, s15
	;; [unrolled: 1-line block ×4, first 2 shown]
	; wave barrier
	ds_store_2addr_b64 v47, v[4:5], v[6:7] offset1:1
	ds_store_2addr_b64 v47, v[10:11], v[12:13] offset0:2 offset1:3
	v_lshl_add_u32 v4, v9, 2, v46
	v_and_b32_e32 v9, 24, v45
	v_min_i32_e32 v18, v44, v18
	v_lshl_add_u32 v5, v8, 2, v46
	v_lshl_add_u32 v6, v27, 2, v46
	;; [unrolled: 1-line block ×6, first 2 shown]
	; wave barrier
	v_lshl_add_u32 v13, v19, 2, v46
	v_dual_cndmask_b32 v26, v14, v16, s9 :: v_dual_min_i32 v12, v44, v9
	s_wait_dscnt 0x2
	v_cndmask_b32_e64 v31, v37, v39, s8
	ds_load_b32 v4, v4
	ds_load_b32 v5, v5
	ds_load_b32 v6, v6
	ds_load_b32 v7, v7
	ds_load_b32 v8, v8
	ds_load_b32 v9, v10
	ds_load_b32 v10, v11
	ds_load_b32 v11, v13
	v_add_min_i32_e64 v49, v18, 16, v44
	v_cndmask_b32_e64 v30, v36, v38, s8
	s_mov_b32 s8, exec_lo
	; wave barrier
	s_delay_alu instid0(VALU_DEP_2) | instskip(NEXT) | instid1(VALU_DEP_1)
	v_add_min_i32_e64 v50, v49, 16, v44
	v_sub_nc_u32_e32 v19, v50, v49
	s_delay_alu instid0(VALU_DEP_1)
	v_dual_cndmask_b32 v27, v15, v17, s9 :: v_dual_sub_nc_u32 v13, v12, v19
	v_cmp_ge_i32_e64 s7, v12, v19
	v_sub_nc_u32_e32 v14, v49, v18
	ds_store_2addr_b64 v48, v[26:27], v[22:23] offset1:1
	ds_store_2addr_b64 v48, v[20:21], v[24:25] offset0:2 offset1:3
	ds_store_2addr_b64 v48, v[28:29], v[32:33] offset0:4 offset1:5
	;; [unrolled: 1-line block ×3, first 2 shown]
	v_dual_cndmask_b32 v16, 0, v13, s7 :: v_dual_min_i32 v14, v12, v14
	v_lshl_add_u32 v13, v18, 3, v46
	; wave barrier
	s_delay_alu instid0(VALU_DEP_2)
	v_cmpx_lt_i32_e64 v16, v14
	s_cbranch_execz .LBB13_266
; %bb.259:
	v_dual_lshlrev_b32 v15, 3, v49 :: v_dual_lshlrev_b32 v17, 3, v12
	s_mov_b32 s9, 0
                                        ; implicit-def: $sgpr10
	s_delay_alu instid0(VALU_DEP_1)
	v_add3_u32 v15, v46, v15, v17
	s_branch .LBB13_262
.LBB13_260:                             ;   in Loop: Header=BB13_262 Depth=1
	s_or_b32 exec_lo, exec_lo, s13
	s_delay_alu instid0(SALU_CYCLE_1) | instskip(SKIP_1) | instid1(SALU_CYCLE_1)
	s_and_not1_b32 s7, s10, exec_lo
	s_and_b32 s10, s12, exec_lo
	s_or_b32 s10, s7, s10
.LBB13_261:                             ;   in Loop: Header=BB13_262 Depth=1
	s_or_b32 exec_lo, exec_lo, s11
	v_dual_add_nc_u32 v19, 1, v17 :: v_dual_cndmask_b32 v14, v14, v17, s10
	s_delay_alu instid0(VALU_DEP_1) | instskip(NEXT) | instid1(VALU_DEP_1)
	v_cndmask_b32_e64 v16, v19, v16, s10
	v_cmp_ge_i32_e64 s7, v16, v14
	s_or_b32 s9, s7, s9
	s_delay_alu instid0(SALU_CYCLE_1)
	s_and_not1_b32 exec_lo, exec_lo, s9
	s_cbranch_execz .LBB13_265
.LBB13_262:                             ; =>This Inner Loop Header: Depth=1
	v_sub_nc_u32_e32 v17, v14, v16
	s_or_b32 s10, s10, exec_lo
	s_mov_b32 s11, exec_lo
	s_delay_alu instid0(VALU_DEP_1) | instskip(NEXT) | instid1(VALU_DEP_1)
	v_lshrrev_b32_e32 v17, 1, v17
	v_add_nc_u32_e32 v17, v17, v16
	s_delay_alu instid0(VALU_DEP_1) | instskip(SKIP_1) | instid1(VALU_DEP_2)
	v_not_b32_e32 v20, v17
	v_lshl_add_u32 v19, v17, 3, v13
	v_lshl_add_u32 v20, v20, 3, v15
	ds_load_b32 v21, v19
	ds_load_b32 v22, v20
	s_wait_dscnt 0x0
	v_cmpx_nlt_f32_e32 v22, v21
	s_cbranch_execz .LBB13_261
; %bb.263:                              ;   in Loop: Header=BB13_262 Depth=1
	s_mov_b32 s12, 0
	s_mov_b32 s13, exec_lo
	v_cmpx_eq_f32_e32 v22, v21
	s_cbranch_execz .LBB13_260
; %bb.264:                              ;   in Loop: Header=BB13_262 Depth=1
	ds_load_b32 v20, v20 offset:4
	ds_load_b32 v19, v19 offset:4
	s_wait_dscnt 0x0
	v_cmp_lt_f32_e64 s7, v20, v19
	s_and_b32 s12, s7, exec_lo
	s_branch .LBB13_260
.LBB13_265:
	s_or_b32 exec_lo, exec_lo, s9
.LBB13_266:
	s_delay_alu instid0(SALU_CYCLE_1) | instskip(SKIP_2) | instid1(VALU_DEP_2)
	s_or_b32 exec_lo, exec_lo, s8
	v_add_nc_u32_e32 v12, v49, v12
	v_lshl_add_u32 v19, v16, 3, v13
	v_sub_nc_u32_e32 v51, v12, v16
	s_delay_alu instid0(VALU_DEP_1) | instskip(SKIP_4) | instid1(SALU_CYCLE_1)
	v_lshl_add_u32 v20, v51, 3, v46
	v_cmp_le_i32_e64 s7, v50, v51
	ds_load_b64 v[12:13], v19
	ds_load_b64 v[14:15], v20
	s_and_saveexec_b32 s8, s7
	s_xor_b32 s7, exec_lo, s8
	s_delay_alu instid0(SALU_CYCLE_1)
	s_or_saveexec_b32 s10, s7
	v_add_nc_u32_e32 v52, v16, v18
	s_mov_b32 s9, 0
	s_xor_b32 exec_lo, exec_lo, s10
	s_cbranch_execz .LBB13_272
; %bb.267:
	s_delay_alu instid0(VALU_DEP_1)
	v_cmp_gt_i32_e64 s7, v49, v52
	s_wait_dscnt 0x0
	v_cmp_nlt_f32_e64 s8, v14, v12
	s_and_b32 s9, s7, s8
	s_mov_b32 s7, -1
	s_and_saveexec_b32 s8, s9
	s_cbranch_execz .LBB13_271
; %bb.268:
	s_mov_b32 s9, 0
	s_mov_b32 s11, exec_lo
	v_cmpx_eq_f32_e32 v14, v12
; %bb.269:
	v_cmp_lt_f32_e64 s7, v15, v13
	s_and_b32 s9, s7, exec_lo
; %bb.270:
	s_or_b32 exec_lo, exec_lo, s11
	s_delay_alu instid0(SALU_CYCLE_1)
	s_or_not1_b32 s7, s9, exec_lo
.LBB13_271:
	s_or_b32 exec_lo, exec_lo, s8
	s_delay_alu instid0(SALU_CYCLE_1)
	s_and_b32 s9, s7, exec_lo
.LBB13_272:
	s_or_b32 exec_lo, exec_lo, s10
	s_xor_b32 s7, s9, -1
                                        ; implicit-def: $vgpr16_vgpr17
	s_delay_alu instid0(SALU_CYCLE_1) | instskip(NEXT) | instid1(SALU_CYCLE_1)
	s_and_saveexec_b32 s8, s7
	s_xor_b32 s7, exec_lo, s8
; %bb.273:
	ds_load_b64 v[16:17], v19 offset:8
                                        ; implicit-def: $vgpr20
; %bb.274:
	s_or_saveexec_b32 s7, s7
	s_wait_dscnt 0x0
	v_mov_b64_e32 v[18:19], v[14:15]
	s_xor_b32 exec_lo, exec_lo, s7
; %bb.275:
	ds_load_b64 v[18:19], v20 offset:8
	v_mov_b64_e32 v[16:17], v[12:13]
; %bb.276:
	s_or_b32 exec_lo, exec_lo, s7
	v_dual_add_nc_u32 v20, 1, v51 :: v_dual_add_nc_u32 v21, 1, v52
	s_mov_b32 s10, 0
	s_mov_b32 s11, exec_lo
	s_delay_alu instid0(VALU_DEP_1) | instskip(NEXT) | instid1(VALU_DEP_2)
	v_cndmask_b32_e64 v53, v51, v20, s9
	v_cndmask_b32_e64 v54, v21, v52, s9
	s_delay_alu instid0(VALU_DEP_2)
	v_cmpx_lt_i32_e64 v53, v50
	s_cbranch_execz .LBB13_282
; %bb.277:
	s_delay_alu instid0(VALU_DEP_2)
	v_cmp_lt_i32_e64 s7, v54, v49
	s_wait_dscnt 0x0
	v_cmp_nlt_f32_e64 s8, v18, v16
	s_and_b32 s10, s7, s8
	s_mov_b32 s7, -1
	s_and_saveexec_b32 s8, s10
	s_cbranch_execz .LBB13_281
; %bb.278:
	s_mov_b32 s10, 0
	s_mov_b32 s12, exec_lo
	v_cmpx_eq_f32_e32 v18, v16
; %bb.279:
	v_cmp_lt_f32_e64 s7, v19, v17
	s_and_b32 s10, s7, exec_lo
; %bb.280:
	s_or_b32 exec_lo, exec_lo, s12
	s_delay_alu instid0(SALU_CYCLE_1)
	s_or_not1_b32 s7, s10, exec_lo
.LBB13_281:
	s_or_b32 exec_lo, exec_lo, s8
	s_delay_alu instid0(SALU_CYCLE_1)
	s_and_b32 s10, s7, exec_lo
.LBB13_282:
	s_or_b32 exec_lo, exec_lo, s11
	s_xor_b32 s7, s10, -1
                                        ; implicit-def: $vgpr20_vgpr21
	s_delay_alu instid0(SALU_CYCLE_1) | instskip(NEXT) | instid1(SALU_CYCLE_1)
	s_and_saveexec_b32 s8, s7
	s_xor_b32 s7, exec_lo, s8
; %bb.283:
	v_lshl_add_u32 v20, v54, 3, v46
	ds_load_b64 v[20:21], v20 offset:8
; %bb.284:
	s_or_saveexec_b32 s7, s7
	s_wait_dscnt 0x0
	v_mov_b64_e32 v[22:23], v[18:19]
	s_xor_b32 exec_lo, exec_lo, s7
; %bb.285:
	v_lshl_add_u32 v20, v53, 3, v46
	ds_load_b64 v[22:23], v20 offset:8
	v_mov_b64_e32 v[20:21], v[16:17]
; %bb.286:
	s_or_b32 exec_lo, exec_lo, s7
	v_add_nc_u32_e32 v24, 1, v53
	s_delay_alu instid0(VALU_DEP_1) | instskip(NEXT) | instid1(VALU_DEP_1)
	v_dual_cndmask_b32 v55, v53, v24, s10 :: v_dual_add_nc_u32 v24, 1, v54
	v_cmp_ge_i32_e64 s7, v55, v50
	s_and_saveexec_b32 s8, s7
	s_delay_alu instid0(SALU_CYCLE_1) | instskip(NEXT) | instid1(SALU_CYCLE_1)
	s_xor_b32 s7, exec_lo, s8
	s_or_saveexec_b32 s12, s7
	v_cndmask_b32_e64 v56, v24, v54, s10
	s_mov_b32 s11, 0
	s_xor_b32 exec_lo, exec_lo, s12
	s_cbranch_execz .LBB13_292
; %bb.287:
	s_delay_alu instid0(VALU_DEP_1)
	v_cmp_lt_i32_e64 s7, v56, v49
	s_wait_dscnt 0x0
	v_cmp_nlt_f32_e64 s8, v22, v20
	s_and_b32 s11, s7, s8
	s_mov_b32 s7, -1
	s_and_saveexec_b32 s8, s11
	s_cbranch_execz .LBB13_291
; %bb.288:
	s_mov_b32 s11, 0
	s_mov_b32 s13, exec_lo
	v_cmpx_eq_f32_e32 v22, v20
; %bb.289:
	v_cmp_lt_f32_e64 s7, v23, v21
	s_and_b32 s11, s7, exec_lo
; %bb.290:
	s_or_b32 exec_lo, exec_lo, s13
	s_delay_alu instid0(SALU_CYCLE_1)
	s_or_not1_b32 s7, s11, exec_lo
.LBB13_291:
	s_or_b32 exec_lo, exec_lo, s8
	s_delay_alu instid0(SALU_CYCLE_1)
	s_and_b32 s11, s7, exec_lo
.LBB13_292:
	s_or_b32 exec_lo, exec_lo, s12
	s_xor_b32 s7, s11, -1
                                        ; implicit-def: $vgpr24_vgpr25
	s_delay_alu instid0(SALU_CYCLE_1) | instskip(NEXT) | instid1(SALU_CYCLE_1)
	s_and_saveexec_b32 s8, s7
	s_xor_b32 s7, exec_lo, s8
; %bb.293:
	v_lshl_add_u32 v24, v56, 3, v46
	ds_load_b64 v[24:25], v24 offset:8
; %bb.294:
	s_or_saveexec_b32 s7, s7
	s_wait_dscnt 0x0
	v_mov_b64_e32 v[26:27], v[22:23]
	s_xor_b32 exec_lo, exec_lo, s7
; %bb.295:
	v_lshl_add_u32 v24, v55, 3, v46
	ds_load_b64 v[26:27], v24 offset:8
	v_mov_b64_e32 v[24:25], v[20:21]
; %bb.296:
	s_or_b32 exec_lo, exec_lo, s7
	v_dual_add_nc_u32 v28, 1, v55 :: v_dual_add_nc_u32 v29, 1, v56
	s_mov_b32 s12, 0
	s_mov_b32 s13, exec_lo
	s_delay_alu instid0(VALU_DEP_1) | instskip(NEXT) | instid1(VALU_DEP_2)
	v_cndmask_b32_e64 v57, v55, v28, s11
	v_cndmask_b32_e64 v58, v29, v56, s11
	s_delay_alu instid0(VALU_DEP_2)
	v_cmpx_lt_i32_e64 v57, v50
	s_cbranch_execz .LBB13_302
; %bb.297:
	s_delay_alu instid0(VALU_DEP_2)
	v_cmp_lt_i32_e64 s7, v58, v49
	s_wait_dscnt 0x0
	v_cmp_nlt_f32_e64 s8, v26, v24
	s_and_b32 s12, s7, s8
	s_mov_b32 s7, -1
	s_and_saveexec_b32 s8, s12
	s_cbranch_execz .LBB13_301
; %bb.298:
	s_mov_b32 s12, 0
	s_mov_b32 s14, exec_lo
	v_cmpx_eq_f32_e32 v26, v24
; %bb.299:
	v_cmp_lt_f32_e64 s7, v27, v25
	s_and_b32 s12, s7, exec_lo
; %bb.300:
	s_or_b32 exec_lo, exec_lo, s14
	s_delay_alu instid0(SALU_CYCLE_1)
	s_or_not1_b32 s7, s12, exec_lo
.LBB13_301:
	s_or_b32 exec_lo, exec_lo, s8
	s_delay_alu instid0(SALU_CYCLE_1)
	s_and_b32 s12, s7, exec_lo
.LBB13_302:
	s_or_b32 exec_lo, exec_lo, s13
	s_xor_b32 s7, s12, -1
                                        ; implicit-def: $vgpr28_vgpr29
	s_delay_alu instid0(SALU_CYCLE_1) | instskip(NEXT) | instid1(SALU_CYCLE_1)
	s_and_saveexec_b32 s8, s7
	s_xor_b32 s7, exec_lo, s8
; %bb.303:
	v_lshl_add_u32 v28, v58, 3, v46
	ds_load_b64 v[28:29], v28 offset:8
; %bb.304:
	s_or_saveexec_b32 s7, s7
	s_wait_dscnt 0x0
	v_mov_b64_e32 v[30:31], v[26:27]
	s_xor_b32 exec_lo, exec_lo, s7
; %bb.305:
	v_lshl_add_u32 v28, v57, 3, v46
	ds_load_b64 v[30:31], v28 offset:8
	v_mov_b64_e32 v[28:29], v[24:25]
; %bb.306:
	s_or_b32 exec_lo, exec_lo, s7
	v_add_nc_u32_e32 v32, 1, v57
	s_delay_alu instid0(VALU_DEP_1) | instskip(NEXT) | instid1(VALU_DEP_1)
	v_dual_cndmask_b32 v59, v57, v32, s12 :: v_dual_add_nc_u32 v32, 1, v58
	v_cmp_ge_i32_e64 s7, v59, v50
	s_and_saveexec_b32 s8, s7
	s_delay_alu instid0(SALU_CYCLE_1) | instskip(NEXT) | instid1(SALU_CYCLE_1)
	s_xor_b32 s7, exec_lo, s8
	s_or_saveexec_b32 s14, s7
	v_cndmask_b32_e64 v60, v32, v58, s12
	s_mov_b32 s13, 0
	s_xor_b32 exec_lo, exec_lo, s14
	s_cbranch_execz .LBB13_312
; %bb.307:
	s_delay_alu instid0(VALU_DEP_1)
	v_cmp_lt_i32_e64 s7, v60, v49
	s_wait_dscnt 0x0
	v_cmp_nlt_f32_e64 s8, v30, v28
	s_and_b32 s13, s7, s8
	s_mov_b32 s7, -1
	s_and_saveexec_b32 s8, s13
	s_cbranch_execz .LBB13_311
; %bb.308:
	s_mov_b32 s13, 0
	s_mov_b32 s15, exec_lo
	v_cmpx_eq_f32_e32 v30, v28
; %bb.309:
	v_cmp_lt_f32_e64 s7, v31, v29
	s_and_b32 s13, s7, exec_lo
; %bb.310:
	s_or_b32 exec_lo, exec_lo, s15
	s_delay_alu instid0(SALU_CYCLE_1)
	s_or_not1_b32 s7, s13, exec_lo
.LBB13_311:
	s_or_b32 exec_lo, exec_lo, s8
	s_delay_alu instid0(SALU_CYCLE_1)
	s_and_b32 s13, s7, exec_lo
.LBB13_312:
	s_or_b32 exec_lo, exec_lo, s14
	s_xor_b32 s7, s13, -1
                                        ; implicit-def: $vgpr32_vgpr33
	s_delay_alu instid0(SALU_CYCLE_1) | instskip(NEXT) | instid1(SALU_CYCLE_1)
	s_and_saveexec_b32 s8, s7
	s_xor_b32 s7, exec_lo, s8
; %bb.313:
	v_lshl_add_u32 v32, v60, 3, v46
	ds_load_b64 v[32:33], v32 offset:8
; %bb.314:
	s_or_saveexec_b32 s7, s7
	s_wait_dscnt 0x0
	v_mov_b64_e32 v[34:35], v[30:31]
	s_xor_b32 exec_lo, exec_lo, s7
; %bb.315:
	v_lshl_add_u32 v32, v59, 3, v46
	ds_load_b64 v[34:35], v32 offset:8
	v_mov_b64_e32 v[32:33], v[28:29]
; %bb.316:
	s_or_b32 exec_lo, exec_lo, s7
	v_dual_add_nc_u32 v36, 1, v59 :: v_dual_add_nc_u32 v37, 1, v60
	s_mov_b32 s14, 0
	s_mov_b32 s15, exec_lo
	s_delay_alu instid0(VALU_DEP_1) | instskip(NEXT) | instid1(VALU_DEP_2)
	v_cndmask_b32_e64 v61, v59, v36, s13
	v_cndmask_b32_e64 v62, v37, v60, s13
	s_delay_alu instid0(VALU_DEP_2)
	v_cmpx_lt_i32_e64 v61, v50
	s_cbranch_execz .LBB13_322
; %bb.317:
	s_delay_alu instid0(VALU_DEP_2)
	v_cmp_lt_i32_e64 s7, v62, v49
	s_wait_dscnt 0x0
	v_cmp_nlt_f32_e64 s8, v34, v32
	s_and_b32 s14, s7, s8
	s_mov_b32 s7, -1
	s_and_saveexec_b32 s8, s14
	s_cbranch_execz .LBB13_321
; %bb.318:
	s_mov_b32 s14, 0
	s_mov_b32 s16, exec_lo
	v_cmpx_eq_f32_e32 v34, v32
; %bb.319:
	v_cmp_lt_f32_e64 s7, v35, v33
	s_and_b32 s14, s7, exec_lo
; %bb.320:
	s_or_b32 exec_lo, exec_lo, s16
	s_delay_alu instid0(SALU_CYCLE_1)
	s_or_not1_b32 s7, s14, exec_lo
.LBB13_321:
	s_or_b32 exec_lo, exec_lo, s8
	s_delay_alu instid0(SALU_CYCLE_1)
	s_and_b32 s14, s7, exec_lo
.LBB13_322:
	s_or_b32 exec_lo, exec_lo, s15
	s_xor_b32 s7, s14, -1
                                        ; implicit-def: $vgpr40_vgpr41
	s_delay_alu instid0(SALU_CYCLE_1) | instskip(NEXT) | instid1(SALU_CYCLE_1)
	s_and_saveexec_b32 s8, s7
	s_xor_b32 s7, exec_lo, s8
; %bb.323:
	v_lshl_add_u32 v36, v62, 3, v46
	ds_load_b64 v[40:41], v36 offset:8
; %bb.324:
	s_or_saveexec_b32 s7, s7
	s_wait_dscnt 0x0
	v_mov_b64_e32 v[42:43], v[34:35]
	s_xor_b32 exec_lo, exec_lo, s7
; %bb.325:
	v_lshl_add_u32 v36, v61, 3, v46
	v_mov_b64_e32 v[40:41], v[32:33]
	ds_load_b64 v[42:43], v36 offset:8
; %bb.326:
	s_or_b32 exec_lo, exec_lo, s7
	v_add_nc_u32_e32 v36, 1, v61
	s_delay_alu instid0(VALU_DEP_1) | instskip(NEXT) | instid1(VALU_DEP_1)
	v_dual_cndmask_b32 v63, v61, v36, s14 :: v_dual_add_nc_u32 v36, 1, v62
	v_cmp_ge_i32_e64 s7, v63, v50
	s_and_saveexec_b32 s8, s7
	s_delay_alu instid0(SALU_CYCLE_1) | instskip(NEXT) | instid1(SALU_CYCLE_1)
	s_xor_b32 s7, exec_lo, s8
	s_or_saveexec_b32 s16, s7
	v_cndmask_b32_e64 v64, v36, v62, s14
	s_mov_b32 s15, 0
	s_xor_b32 exec_lo, exec_lo, s16
	s_cbranch_execz .LBB13_332
; %bb.327:
	s_delay_alu instid0(VALU_DEP_1)
	v_cmp_lt_i32_e64 s7, v64, v49
	s_wait_dscnt 0x0
	v_cmp_nlt_f32_e64 s8, v42, v40
	s_and_b32 s15, s7, s8
	s_mov_b32 s7, -1
	s_and_saveexec_b32 s8, s15
	s_cbranch_execz .LBB13_331
; %bb.328:
	s_mov_b32 s15, 0
	s_mov_b32 s17, exec_lo
	v_cmpx_eq_f32_e32 v42, v40
; %bb.329:
	v_cmp_lt_f32_e64 s7, v43, v41
	s_and_b32 s15, s7, exec_lo
; %bb.330:
	s_or_b32 exec_lo, exec_lo, s17
	s_delay_alu instid0(SALU_CYCLE_1)
	s_or_not1_b32 s7, s15, exec_lo
.LBB13_331:
	s_or_b32 exec_lo, exec_lo, s8
	s_delay_alu instid0(SALU_CYCLE_1)
	s_and_b32 s15, s7, exec_lo
.LBB13_332:
	s_or_b32 exec_lo, exec_lo, s16
	s_xor_b32 s7, s15, -1
                                        ; implicit-def: $vgpr36_vgpr37
	s_delay_alu instid0(SALU_CYCLE_1) | instskip(NEXT) | instid1(SALU_CYCLE_1)
	s_and_saveexec_b32 s8, s7
	s_xor_b32 s7, exec_lo, s8
; %bb.333:
	v_lshl_add_u32 v36, v64, 3, v46
	ds_load_b64 v[36:37], v36 offset:8
; %bb.334:
	s_or_saveexec_b32 s7, s7
	s_wait_dscnt 0x0
	v_mov_b64_e32 v[38:39], v[42:43]
	s_xor_b32 exec_lo, exec_lo, s7
; %bb.335:
	v_lshl_add_u32 v36, v63, 3, v46
	ds_load_b64 v[38:39], v36 offset:8
	v_mov_b64_e32 v[36:37], v[40:41]
; %bb.336:
	s_or_b32 exec_lo, exec_lo, s7
	v_dual_add_nc_u32 v65, 1, v63 :: v_dual_add_nc_u32 v66, 1, v64
	s_mov_b32 s8, 0
	s_mov_b32 s16, exec_lo
	s_delay_alu instid0(VALU_DEP_1) | instskip(NEXT) | instid1(VALU_DEP_1)
	v_dual_cndmask_b32 v65, v63, v65, s15 :: v_dual_cndmask_b32 v66, v66, v64, s15
	v_cmpx_lt_i32_e64 v65, v50
	s_cbranch_execz .LBB13_342
; %bb.337:
	s_delay_alu instid0(VALU_DEP_2)
	v_cmp_lt_i32_e64 s7, v66, v49
	s_wait_dscnt 0x0
	v_cmp_nlt_f32_e64 s8, v38, v36
	s_and_b32 s17, s7, s8
	s_mov_b32 s7, -1
	s_and_saveexec_b32 s8, s17
	s_cbranch_execz .LBB13_341
; %bb.338:
	s_mov_b32 s17, 0
	s_mov_b32 s18, exec_lo
	v_cmpx_eq_f32_e32 v38, v36
; %bb.339:
	v_cmp_lt_f32_e64 s7, v39, v37
	s_and_b32 s17, s7, exec_lo
; %bb.340:
	s_or_b32 exec_lo, exec_lo, s18
	s_delay_alu instid0(SALU_CYCLE_1)
	s_or_not1_b32 s7, s17, exec_lo
.LBB13_341:
	s_or_b32 exec_lo, exec_lo, s8
	s_delay_alu instid0(SALU_CYCLE_1)
	s_and_b32 s8, s7, exec_lo
.LBB13_342:
	s_or_b32 exec_lo, exec_lo, s16
	v_dual_cndmask_b32 v20, v20, v22, s11 :: v_dual_cndmask_b32 v21, v21, v23, s11
	v_dual_cndmask_b32 v23, v17, v19, s10 :: v_dual_cndmask_b32 v22, v16, v18, s10
	v_dual_cndmask_b32 v18, v52, v51, s9 :: v_dual_cndmask_b32 v19, v66, v65, s8
	v_dual_cndmask_b32 v25, v25, v27, s12 :: v_dual_cndmask_b32 v24, v24, v26, s12
	v_dual_cndmask_b32 v27, v56, v55, s11 :: v_dual_cndmask_b32 v17, v54, v53, s10
	v_and_b32_e32 v16, 0xc0, v45
	v_dual_cndmask_b32 v28, v28, v30, s13 :: v_dual_cndmask_b32 v29, v29, v31, s13
	v_dual_cndmask_b32 v30, v60, v59, s13 :: v_dual_cndmask_b32 v26, v58, v57, s12
	;; [unrolled: 1-line block ×3, first 2 shown]
	v_cndmask_b32_e64 v42, v64, v63, s15
	v_dual_cndmask_b32 v33, v33, v35, s14 :: v_dual_cndmask_b32 v32, v32, v34, s14
	v_cndmask_b32_e64 v34, v62, v61, s14
	; wave barrier
	ds_store_2addr_b64 v47, v[4:5], v[6:7] offset1:1
	ds_store_2addr_b64 v47, v[8:9], v[10:11] offset0:2 offset1:3
	v_lshl_add_u32 v4, v18, 2, v46
	v_dual_cndmask_b32 v14, v12, v14, s9 :: v_dual_bitop2_b32 v9, 56, v45 bitop3:0x40
	v_min_i32_e32 v16, v44, v16
	v_lshl_add_u32 v5, v17, 2, v46
	v_lshl_add_u32 v6, v27, 2, v46
	;; [unrolled: 1-line block ×6, first 2 shown]
	; wave barrier
	v_lshl_add_u32 v17, v19, 2, v46
	v_dual_cndmask_b32 v15, v13, v15, s9 :: v_dual_min_i32 v18, v44, v9
	ds_load_b32 v4, v4
	ds_load_b32 v5, v5
	;; [unrolled: 1-line block ×8, first 2 shown]
	v_add_min_i32_e64 v49, v16, 32, v44
	s_wait_dscnt 0xa
	v_dual_cndmask_b32 v27, v37, v39, s8 :: v_dual_cndmask_b32 v26, v36, v38, s8
	s_mov_b32 s8, exec_lo
	s_delay_alu instid0(VALU_DEP_2)
	v_add_min_i32_e64 v50, v49, 32, v44
	; wave barrier
	ds_store_2addr_b64 v48, v[14:15], v[22:23] offset1:1
	ds_store_2addr_b64 v48, v[20:21], v[24:25] offset0:2 offset1:3
	ds_store_2addr_b64 v48, v[28:29], v[32:33] offset0:4 offset1:5
	;; [unrolled: 1-line block ×3, first 2 shown]
	v_dual_sub_nc_u32 v19, v50, v49 :: v_dual_sub_nc_u32 v13, v49, v16
	; wave barrier
	s_delay_alu instid0(VALU_DEP_1) | instskip(SKIP_1) | instid1(VALU_DEP_1)
	v_sub_nc_u32_e32 v12, v18, v19
	v_cmp_ge_i32_e64 s7, v18, v19
	v_dual_cndmask_b32 v17, 0, v12, s7 :: v_dual_min_i32 v13, v18, v13
	v_lshl_add_u32 v12, v16, 3, v46
	s_delay_alu instid0(VALU_DEP_2)
	v_cmpx_lt_i32_e64 v17, v13
	s_cbranch_execz .LBB13_350
; %bb.343:
	v_dual_lshlrev_b32 v14, 3, v49 :: v_dual_lshlrev_b32 v15, 3, v18
	s_mov_b32 s9, 0
                                        ; implicit-def: $sgpr10
	s_delay_alu instid0(VALU_DEP_1)
	v_add3_u32 v14, v46, v14, v15
	s_branch .LBB13_346
.LBB13_344:                             ;   in Loop: Header=BB13_346 Depth=1
	s_or_b32 exec_lo, exec_lo, s13
	s_delay_alu instid0(SALU_CYCLE_1) | instskip(SKIP_1) | instid1(SALU_CYCLE_1)
	s_and_not1_b32 s7, s10, exec_lo
	s_and_b32 s10, s12, exec_lo
	s_or_b32 s10, s7, s10
.LBB13_345:                             ;   in Loop: Header=BB13_346 Depth=1
	s_or_b32 exec_lo, exec_lo, s11
	v_dual_add_nc_u32 v19, 1, v15 :: v_dual_cndmask_b32 v13, v13, v15, s10
	s_delay_alu instid0(VALU_DEP_1) | instskip(NEXT) | instid1(VALU_DEP_1)
	v_cndmask_b32_e64 v17, v19, v17, s10
	v_cmp_ge_i32_e64 s7, v17, v13
	s_or_b32 s9, s7, s9
	s_delay_alu instid0(SALU_CYCLE_1)
	s_and_not1_b32 exec_lo, exec_lo, s9
	s_cbranch_execz .LBB13_349
.LBB13_346:                             ; =>This Inner Loop Header: Depth=1
	v_sub_nc_u32_e32 v15, v13, v17
	s_or_b32 s10, s10, exec_lo
	s_mov_b32 s11, exec_lo
	s_delay_alu instid0(VALU_DEP_1) | instskip(NEXT) | instid1(VALU_DEP_1)
	v_lshrrev_b32_e32 v15, 1, v15
	v_add_nc_u32_e32 v15, v15, v17
	s_delay_alu instid0(VALU_DEP_1) | instskip(SKIP_1) | instid1(VALU_DEP_2)
	v_not_b32_e32 v20, v15
	v_lshl_add_u32 v19, v15, 3, v12
	v_lshl_add_u32 v20, v20, 3, v14
	ds_load_b32 v21, v19
	ds_load_b32 v22, v20
	s_wait_dscnt 0x0
	v_cmpx_nlt_f32_e32 v22, v21
	s_cbranch_execz .LBB13_345
; %bb.347:                              ;   in Loop: Header=BB13_346 Depth=1
	s_mov_b32 s12, 0
	s_mov_b32 s13, exec_lo
	v_cmpx_eq_f32_e32 v22, v21
	s_cbranch_execz .LBB13_344
; %bb.348:                              ;   in Loop: Header=BB13_346 Depth=1
	ds_load_b32 v20, v20 offset:4
	ds_load_b32 v19, v19 offset:4
	s_wait_dscnt 0x0
	v_cmp_lt_f32_e64 s7, v20, v19
	s_and_b32 s12, s7, exec_lo
	s_branch .LBB13_344
.LBB13_349:
	s_or_b32 exec_lo, exec_lo, s9
.LBB13_350:
	s_delay_alu instid0(SALU_CYCLE_1) | instskip(SKIP_2) | instid1(VALU_DEP_2)
	s_or_b32 exec_lo, exec_lo, s8
	v_add_nc_u32_e32 v13, v49, v18
	v_lshl_add_u32 v18, v17, 3, v12
	v_sub_nc_u32_e32 v51, v13, v17
	s_delay_alu instid0(VALU_DEP_1) | instskip(SKIP_4) | instid1(SALU_CYCLE_1)
	v_lshl_add_u32 v20, v51, 3, v46
	v_cmp_le_i32_e64 s7, v50, v51
	ds_load_b64 v[12:13], v18
	ds_load_b64 v[14:15], v20
	s_and_saveexec_b32 s8, s7
	s_xor_b32 s7, exec_lo, s8
	s_delay_alu instid0(SALU_CYCLE_1)
	s_or_saveexec_b32 s10, s7
	v_add_nc_u32_e32 v52, v17, v16
	s_mov_b32 s9, 0
	s_xor_b32 exec_lo, exec_lo, s10
	s_cbranch_execz .LBB13_356
; %bb.351:
	s_delay_alu instid0(VALU_DEP_1)
	v_cmp_gt_i32_e64 s7, v49, v52
	s_wait_dscnt 0x0
	v_cmp_nlt_f32_e64 s8, v14, v12
	s_and_b32 s9, s7, s8
	s_mov_b32 s7, -1
	s_and_saveexec_b32 s8, s9
	s_cbranch_execz .LBB13_355
; %bb.352:
	s_mov_b32 s9, 0
	s_mov_b32 s11, exec_lo
	v_cmpx_eq_f32_e32 v14, v12
; %bb.353:
	v_cmp_lt_f32_e64 s7, v15, v13
	s_and_b32 s9, s7, exec_lo
; %bb.354:
	s_or_b32 exec_lo, exec_lo, s11
	s_delay_alu instid0(SALU_CYCLE_1)
	s_or_not1_b32 s7, s9, exec_lo
.LBB13_355:
	s_or_b32 exec_lo, exec_lo, s8
	s_delay_alu instid0(SALU_CYCLE_1)
	s_and_b32 s9, s7, exec_lo
.LBB13_356:
	s_or_b32 exec_lo, exec_lo, s10
	s_xor_b32 s7, s9, -1
                                        ; implicit-def: $vgpr16_vgpr17
	s_delay_alu instid0(SALU_CYCLE_1) | instskip(NEXT) | instid1(SALU_CYCLE_1)
	s_and_saveexec_b32 s8, s7
	s_xor_b32 s7, exec_lo, s8
; %bb.357:
	ds_load_b64 v[16:17], v18 offset:8
                                        ; implicit-def: $vgpr20
; %bb.358:
	s_or_saveexec_b32 s7, s7
	s_wait_dscnt 0x0
	v_mov_b64_e32 v[18:19], v[14:15]
	s_xor_b32 exec_lo, exec_lo, s7
; %bb.359:
	ds_load_b64 v[18:19], v20 offset:8
	v_mov_b64_e32 v[16:17], v[12:13]
; %bb.360:
	s_or_b32 exec_lo, exec_lo, s7
	v_dual_add_nc_u32 v20, 1, v51 :: v_dual_add_nc_u32 v21, 1, v52
	s_mov_b32 s10, 0
	s_mov_b32 s11, exec_lo
	s_delay_alu instid0(VALU_DEP_1) | instskip(NEXT) | instid1(VALU_DEP_2)
	v_cndmask_b32_e64 v53, v51, v20, s9
	v_cndmask_b32_e64 v54, v21, v52, s9
	s_delay_alu instid0(VALU_DEP_2)
	v_cmpx_lt_i32_e64 v53, v50
	s_cbranch_execz .LBB13_366
; %bb.361:
	s_delay_alu instid0(VALU_DEP_2)
	v_cmp_lt_i32_e64 s7, v54, v49
	s_wait_dscnt 0x0
	v_cmp_nlt_f32_e64 s8, v18, v16
	s_and_b32 s10, s7, s8
	s_mov_b32 s7, -1
	s_and_saveexec_b32 s8, s10
	s_cbranch_execz .LBB13_365
; %bb.362:
	s_mov_b32 s10, 0
	s_mov_b32 s12, exec_lo
	v_cmpx_eq_f32_e32 v18, v16
; %bb.363:
	v_cmp_lt_f32_e64 s7, v19, v17
	s_and_b32 s10, s7, exec_lo
; %bb.364:
	s_or_b32 exec_lo, exec_lo, s12
	s_delay_alu instid0(SALU_CYCLE_1)
	s_or_not1_b32 s7, s10, exec_lo
.LBB13_365:
	s_or_b32 exec_lo, exec_lo, s8
	s_delay_alu instid0(SALU_CYCLE_1)
	s_and_b32 s10, s7, exec_lo
.LBB13_366:
	s_or_b32 exec_lo, exec_lo, s11
	s_xor_b32 s7, s10, -1
                                        ; implicit-def: $vgpr20_vgpr21
	s_delay_alu instid0(SALU_CYCLE_1) | instskip(NEXT) | instid1(SALU_CYCLE_1)
	s_and_saveexec_b32 s8, s7
	s_xor_b32 s7, exec_lo, s8
; %bb.367:
	v_lshl_add_u32 v20, v54, 3, v46
	ds_load_b64 v[20:21], v20 offset:8
; %bb.368:
	s_or_saveexec_b32 s7, s7
	s_wait_dscnt 0x0
	v_mov_b64_e32 v[22:23], v[18:19]
	s_xor_b32 exec_lo, exec_lo, s7
; %bb.369:
	v_lshl_add_u32 v20, v53, 3, v46
	ds_load_b64 v[22:23], v20 offset:8
	v_mov_b64_e32 v[20:21], v[16:17]
; %bb.370:
	s_or_b32 exec_lo, exec_lo, s7
	v_add_nc_u32_e32 v24, 1, v53
	s_delay_alu instid0(VALU_DEP_1) | instskip(NEXT) | instid1(VALU_DEP_1)
	v_dual_cndmask_b32 v55, v53, v24, s10 :: v_dual_add_nc_u32 v24, 1, v54
	v_cmp_ge_i32_e64 s7, v55, v50
	s_and_saveexec_b32 s8, s7
	s_delay_alu instid0(SALU_CYCLE_1) | instskip(NEXT) | instid1(SALU_CYCLE_1)
	s_xor_b32 s7, exec_lo, s8
	s_or_saveexec_b32 s12, s7
	v_cndmask_b32_e64 v56, v24, v54, s10
	s_mov_b32 s11, 0
	s_xor_b32 exec_lo, exec_lo, s12
	s_cbranch_execz .LBB13_376
; %bb.371:
	s_delay_alu instid0(VALU_DEP_1)
	v_cmp_lt_i32_e64 s7, v56, v49
	s_wait_dscnt 0x0
	v_cmp_nlt_f32_e64 s8, v22, v20
	s_and_b32 s11, s7, s8
	s_mov_b32 s7, -1
	s_and_saveexec_b32 s8, s11
	s_cbranch_execz .LBB13_375
; %bb.372:
	s_mov_b32 s11, 0
	s_mov_b32 s13, exec_lo
	v_cmpx_eq_f32_e32 v22, v20
; %bb.373:
	v_cmp_lt_f32_e64 s7, v23, v21
	s_and_b32 s11, s7, exec_lo
; %bb.374:
	s_or_b32 exec_lo, exec_lo, s13
	s_delay_alu instid0(SALU_CYCLE_1)
	s_or_not1_b32 s7, s11, exec_lo
.LBB13_375:
	s_or_b32 exec_lo, exec_lo, s8
	s_delay_alu instid0(SALU_CYCLE_1)
	s_and_b32 s11, s7, exec_lo
.LBB13_376:
	s_or_b32 exec_lo, exec_lo, s12
	s_xor_b32 s7, s11, -1
                                        ; implicit-def: $vgpr24_vgpr25
	s_delay_alu instid0(SALU_CYCLE_1) | instskip(NEXT) | instid1(SALU_CYCLE_1)
	s_and_saveexec_b32 s8, s7
	s_xor_b32 s7, exec_lo, s8
; %bb.377:
	v_lshl_add_u32 v24, v56, 3, v46
	ds_load_b64 v[24:25], v24 offset:8
; %bb.378:
	s_or_saveexec_b32 s7, s7
	s_wait_dscnt 0x0
	v_mov_b64_e32 v[26:27], v[22:23]
	s_xor_b32 exec_lo, exec_lo, s7
; %bb.379:
	v_lshl_add_u32 v24, v55, 3, v46
	ds_load_b64 v[26:27], v24 offset:8
	v_mov_b64_e32 v[24:25], v[20:21]
; %bb.380:
	s_or_b32 exec_lo, exec_lo, s7
	v_dual_add_nc_u32 v28, 1, v55 :: v_dual_add_nc_u32 v29, 1, v56
	s_mov_b32 s12, 0
	s_mov_b32 s13, exec_lo
	s_delay_alu instid0(VALU_DEP_1) | instskip(NEXT) | instid1(VALU_DEP_2)
	v_cndmask_b32_e64 v57, v55, v28, s11
	v_cndmask_b32_e64 v58, v29, v56, s11
	s_delay_alu instid0(VALU_DEP_2)
	v_cmpx_lt_i32_e64 v57, v50
	s_cbranch_execz .LBB13_386
; %bb.381:
	s_delay_alu instid0(VALU_DEP_2)
	v_cmp_lt_i32_e64 s7, v58, v49
	s_wait_dscnt 0x0
	v_cmp_nlt_f32_e64 s8, v26, v24
	s_and_b32 s12, s7, s8
	s_mov_b32 s7, -1
	s_and_saveexec_b32 s8, s12
	s_cbranch_execz .LBB13_385
; %bb.382:
	s_mov_b32 s12, 0
	s_mov_b32 s14, exec_lo
	v_cmpx_eq_f32_e32 v26, v24
; %bb.383:
	v_cmp_lt_f32_e64 s7, v27, v25
	s_and_b32 s12, s7, exec_lo
; %bb.384:
	s_or_b32 exec_lo, exec_lo, s14
	s_delay_alu instid0(SALU_CYCLE_1)
	s_or_not1_b32 s7, s12, exec_lo
.LBB13_385:
	s_or_b32 exec_lo, exec_lo, s8
	s_delay_alu instid0(SALU_CYCLE_1)
	s_and_b32 s12, s7, exec_lo
.LBB13_386:
	s_or_b32 exec_lo, exec_lo, s13
	s_xor_b32 s7, s12, -1
                                        ; implicit-def: $vgpr28_vgpr29
	s_delay_alu instid0(SALU_CYCLE_1) | instskip(NEXT) | instid1(SALU_CYCLE_1)
	s_and_saveexec_b32 s8, s7
	s_xor_b32 s7, exec_lo, s8
; %bb.387:
	v_lshl_add_u32 v28, v58, 3, v46
	ds_load_b64 v[28:29], v28 offset:8
; %bb.388:
	s_or_saveexec_b32 s7, s7
	s_wait_dscnt 0x0
	v_mov_b64_e32 v[30:31], v[26:27]
	s_xor_b32 exec_lo, exec_lo, s7
; %bb.389:
	v_lshl_add_u32 v28, v57, 3, v46
	ds_load_b64 v[30:31], v28 offset:8
	v_mov_b64_e32 v[28:29], v[24:25]
; %bb.390:
	s_or_b32 exec_lo, exec_lo, s7
	v_add_nc_u32_e32 v32, 1, v57
	s_delay_alu instid0(VALU_DEP_1) | instskip(NEXT) | instid1(VALU_DEP_1)
	v_dual_cndmask_b32 v59, v57, v32, s12 :: v_dual_add_nc_u32 v32, 1, v58
	v_cmp_ge_i32_e64 s7, v59, v50
	s_and_saveexec_b32 s8, s7
	s_delay_alu instid0(SALU_CYCLE_1) | instskip(NEXT) | instid1(SALU_CYCLE_1)
	s_xor_b32 s7, exec_lo, s8
	s_or_saveexec_b32 s14, s7
	v_cndmask_b32_e64 v60, v32, v58, s12
	s_mov_b32 s13, 0
	s_xor_b32 exec_lo, exec_lo, s14
	s_cbranch_execz .LBB13_396
; %bb.391:
	s_delay_alu instid0(VALU_DEP_1)
	v_cmp_lt_i32_e64 s7, v60, v49
	s_wait_dscnt 0x0
	v_cmp_nlt_f32_e64 s8, v30, v28
	s_and_b32 s13, s7, s8
	s_mov_b32 s7, -1
	s_and_saveexec_b32 s8, s13
	s_cbranch_execz .LBB13_395
; %bb.392:
	s_mov_b32 s13, 0
	s_mov_b32 s15, exec_lo
	v_cmpx_eq_f32_e32 v30, v28
; %bb.393:
	v_cmp_lt_f32_e64 s7, v31, v29
	s_and_b32 s13, s7, exec_lo
; %bb.394:
	s_or_b32 exec_lo, exec_lo, s15
	s_delay_alu instid0(SALU_CYCLE_1)
	s_or_not1_b32 s7, s13, exec_lo
.LBB13_395:
	s_or_b32 exec_lo, exec_lo, s8
	s_delay_alu instid0(SALU_CYCLE_1)
	s_and_b32 s13, s7, exec_lo
.LBB13_396:
	s_or_b32 exec_lo, exec_lo, s14
	s_xor_b32 s7, s13, -1
                                        ; implicit-def: $vgpr32_vgpr33
	s_delay_alu instid0(SALU_CYCLE_1) | instskip(NEXT) | instid1(SALU_CYCLE_1)
	s_and_saveexec_b32 s8, s7
	s_xor_b32 s7, exec_lo, s8
; %bb.397:
	v_lshl_add_u32 v32, v60, 3, v46
	ds_load_b64 v[32:33], v32 offset:8
; %bb.398:
	s_or_saveexec_b32 s7, s7
	s_wait_dscnt 0x0
	v_mov_b64_e32 v[34:35], v[30:31]
	s_xor_b32 exec_lo, exec_lo, s7
; %bb.399:
	v_lshl_add_u32 v32, v59, 3, v46
	ds_load_b64 v[34:35], v32 offset:8
	v_mov_b64_e32 v[32:33], v[28:29]
; %bb.400:
	s_or_b32 exec_lo, exec_lo, s7
	v_dual_add_nc_u32 v36, 1, v59 :: v_dual_add_nc_u32 v37, 1, v60
	s_mov_b32 s14, 0
	s_mov_b32 s15, exec_lo
	s_delay_alu instid0(VALU_DEP_1) | instskip(NEXT) | instid1(VALU_DEP_2)
	v_cndmask_b32_e64 v61, v59, v36, s13
	v_cndmask_b32_e64 v62, v37, v60, s13
	s_delay_alu instid0(VALU_DEP_2)
	v_cmpx_lt_i32_e64 v61, v50
	s_cbranch_execz .LBB13_406
; %bb.401:
	s_delay_alu instid0(VALU_DEP_2)
	v_cmp_lt_i32_e64 s7, v62, v49
	s_wait_dscnt 0x0
	v_cmp_nlt_f32_e64 s8, v34, v32
	s_and_b32 s14, s7, s8
	s_mov_b32 s7, -1
	s_and_saveexec_b32 s8, s14
	s_cbranch_execz .LBB13_405
; %bb.402:
	s_mov_b32 s14, 0
	s_mov_b32 s16, exec_lo
	v_cmpx_eq_f32_e32 v34, v32
; %bb.403:
	v_cmp_lt_f32_e64 s7, v35, v33
	s_and_b32 s14, s7, exec_lo
; %bb.404:
	s_or_b32 exec_lo, exec_lo, s16
	s_delay_alu instid0(SALU_CYCLE_1)
	s_or_not1_b32 s7, s14, exec_lo
.LBB13_405:
	s_or_b32 exec_lo, exec_lo, s8
	s_delay_alu instid0(SALU_CYCLE_1)
	s_and_b32 s14, s7, exec_lo
.LBB13_406:
	s_or_b32 exec_lo, exec_lo, s15
	s_xor_b32 s7, s14, -1
                                        ; implicit-def: $vgpr40_vgpr41
	s_delay_alu instid0(SALU_CYCLE_1) | instskip(NEXT) | instid1(SALU_CYCLE_1)
	s_and_saveexec_b32 s8, s7
	s_xor_b32 s7, exec_lo, s8
; %bb.407:
	v_lshl_add_u32 v36, v62, 3, v46
	ds_load_b64 v[40:41], v36 offset:8
; %bb.408:
	s_or_saveexec_b32 s7, s7
	s_wait_dscnt 0x0
	v_mov_b64_e32 v[42:43], v[34:35]
	s_xor_b32 exec_lo, exec_lo, s7
; %bb.409:
	v_lshl_add_u32 v36, v61, 3, v46
	v_mov_b64_e32 v[40:41], v[32:33]
	ds_load_b64 v[42:43], v36 offset:8
; %bb.410:
	s_or_b32 exec_lo, exec_lo, s7
	v_add_nc_u32_e32 v36, 1, v61
	s_delay_alu instid0(VALU_DEP_1) | instskip(NEXT) | instid1(VALU_DEP_1)
	v_dual_cndmask_b32 v63, v61, v36, s14 :: v_dual_add_nc_u32 v36, 1, v62
	v_cmp_ge_i32_e64 s7, v63, v50
	s_and_saveexec_b32 s8, s7
	s_delay_alu instid0(SALU_CYCLE_1) | instskip(NEXT) | instid1(SALU_CYCLE_1)
	s_xor_b32 s7, exec_lo, s8
	s_or_saveexec_b32 s16, s7
	v_cndmask_b32_e64 v64, v36, v62, s14
	s_mov_b32 s15, 0
	s_xor_b32 exec_lo, exec_lo, s16
	s_cbranch_execz .LBB13_416
; %bb.411:
	s_delay_alu instid0(VALU_DEP_1)
	v_cmp_lt_i32_e64 s7, v64, v49
	s_wait_dscnt 0x0
	v_cmp_nlt_f32_e64 s8, v42, v40
	s_and_b32 s15, s7, s8
	s_mov_b32 s7, -1
	s_and_saveexec_b32 s8, s15
	s_cbranch_execz .LBB13_415
; %bb.412:
	s_mov_b32 s15, 0
	s_mov_b32 s17, exec_lo
	v_cmpx_eq_f32_e32 v42, v40
; %bb.413:
	v_cmp_lt_f32_e64 s7, v43, v41
	s_and_b32 s15, s7, exec_lo
; %bb.414:
	s_or_b32 exec_lo, exec_lo, s17
	s_delay_alu instid0(SALU_CYCLE_1)
	s_or_not1_b32 s7, s15, exec_lo
.LBB13_415:
	s_or_b32 exec_lo, exec_lo, s8
	s_delay_alu instid0(SALU_CYCLE_1)
	s_and_b32 s15, s7, exec_lo
.LBB13_416:
	s_or_b32 exec_lo, exec_lo, s16
	s_xor_b32 s7, s15, -1
                                        ; implicit-def: $vgpr36_vgpr37
	s_delay_alu instid0(SALU_CYCLE_1) | instskip(NEXT) | instid1(SALU_CYCLE_1)
	s_and_saveexec_b32 s8, s7
	s_xor_b32 s7, exec_lo, s8
; %bb.417:
	v_lshl_add_u32 v36, v64, 3, v46
	ds_load_b64 v[36:37], v36 offset:8
; %bb.418:
	s_or_saveexec_b32 s7, s7
	s_wait_dscnt 0x0
	v_mov_b64_e32 v[38:39], v[42:43]
	s_xor_b32 exec_lo, exec_lo, s7
; %bb.419:
	v_lshl_add_u32 v36, v63, 3, v46
	ds_load_b64 v[38:39], v36 offset:8
	v_mov_b64_e32 v[36:37], v[40:41]
; %bb.420:
	s_or_b32 exec_lo, exec_lo, s7
	v_dual_add_nc_u32 v65, 1, v63 :: v_dual_add_nc_u32 v66, 1, v64
	s_mov_b32 s8, 0
	s_mov_b32 s16, exec_lo
	s_delay_alu instid0(VALU_DEP_1) | instskip(NEXT) | instid1(VALU_DEP_1)
	v_dual_cndmask_b32 v65, v63, v65, s15 :: v_dual_cndmask_b32 v66, v66, v64, s15
	v_cmpx_lt_i32_e64 v65, v50
	s_cbranch_execz .LBB13_426
; %bb.421:
	s_delay_alu instid0(VALU_DEP_2)
	v_cmp_lt_i32_e64 s7, v66, v49
	s_wait_dscnt 0x0
	v_cmp_nlt_f32_e64 s8, v38, v36
	s_and_b32 s17, s7, s8
	s_mov_b32 s7, -1
	s_and_saveexec_b32 s8, s17
	s_cbranch_execz .LBB13_425
; %bb.422:
	s_mov_b32 s17, 0
	s_mov_b32 s18, exec_lo
	v_cmpx_eq_f32_e32 v38, v36
; %bb.423:
	v_cmp_lt_f32_e64 s7, v39, v37
	s_and_b32 s17, s7, exec_lo
; %bb.424:
	s_or_b32 exec_lo, exec_lo, s18
	s_delay_alu instid0(SALU_CYCLE_1)
	s_or_not1_b32 s7, s17, exec_lo
.LBB13_425:
	s_or_b32 exec_lo, exec_lo, s8
	s_delay_alu instid0(SALU_CYCLE_1)
	s_and_b32 s8, s7, exec_lo
.LBB13_426:
	s_or_b32 exec_lo, exec_lo, s16
	v_dual_cndmask_b32 v20, v20, v22, s11 :: v_dual_cndmask_b32 v21, v21, v23, s11
	v_dual_cndmask_b32 v23, v17, v19, s10 :: v_dual_cndmask_b32 v22, v16, v18, s10
	;; [unrolled: 1-line block ×5, first 2 shown]
	v_and_b32_e32 v16, 0x80, v45
	v_dual_cndmask_b32 v28, v28, v30, s13 :: v_dual_cndmask_b32 v29, v29, v31, s13
	v_dual_cndmask_b32 v30, v60, v59, s13 :: v_dual_cndmask_b32 v26, v58, v57, s12
	;; [unrolled: 1-line block ×3, first 2 shown]
	v_cndmask_b32_e64 v42, v64, v63, s15
	v_dual_cndmask_b32 v33, v33, v35, s14 :: v_dual_cndmask_b32 v32, v32, v34, s14
	v_cndmask_b32_e64 v34, v62, v61, s14
	; wave barrier
	ds_store_2addr_b64 v47, v[4:5], v[6:7] offset1:1
	ds_store_2addr_b64 v47, v[8:9], v[10:11] offset0:2 offset1:3
	v_lshl_add_u32 v4, v18, 2, v46
	v_and_b32_e32 v9, 0x78, v45
	v_min_i32_e32 v16, v44, v16
	v_lshl_add_u32 v5, v17, 2, v46
	v_lshl_add_u32 v6, v27, 2, v46
	;; [unrolled: 1-line block ×6, first 2 shown]
	; wave barrier
	v_lshl_add_u32 v17, v19, 2, v46
	v_dual_cndmask_b32 v15, v13, v15, s9 :: v_dual_min_i32 v18, v44, v9
	ds_load_b32 v4, v4
	ds_load_b32 v5, v5
	;; [unrolled: 1-line block ×8, first 2 shown]
	v_add_min_i32_e64 v49, v16, 64, v44
	s_wait_dscnt 0xa
	v_dual_cndmask_b32 v14, v12, v14, s9 :: v_dual_cndmask_b32 v27, v37, v39, s8
	; wave barrier
	s_delay_alu instid0(VALU_DEP_2) | instskip(SKIP_3) | instid1(VALU_DEP_1)
	v_add_min_i32_e64 v50, v49, 64, v44
	ds_store_2addr_b64 v48, v[14:15], v[22:23] offset1:1
	ds_store_2addr_b64 v48, v[20:21], v[24:25] offset0:2 offset1:3
	v_dual_sub_nc_u32 v19, v50, v49 :: v_dual_sub_nc_u32 v13, v49, v16
	v_sub_nc_u32_e32 v12, v18, v19
	v_cmp_ge_i32_e64 s7, v18, v19
	s_delay_alu instid0(VALU_DEP_3)
	v_dual_cndmask_b32 v26, v36, v38, s8 :: v_dual_min_i32 v13, v18, v13
	s_mov_b32 s8, exec_lo
	v_cndmask_b32_e64 v17, 0, v12, s7
	v_lshl_add_u32 v12, v16, 3, v46
	ds_store_2addr_b64 v48, v[28:29], v[32:33] offset0:4 offset1:5
	ds_store_2addr_b64 v48, v[40:41], v[26:27] offset0:6 offset1:7
	; wave barrier
	v_cmpx_lt_i32_e64 v17, v13
	s_cbranch_execz .LBB13_434
; %bb.427:
	v_dual_lshlrev_b32 v14, 3, v49 :: v_dual_lshlrev_b32 v15, 3, v18
	s_mov_b32 s9, 0
                                        ; implicit-def: $sgpr10
	s_delay_alu instid0(VALU_DEP_1)
	v_add3_u32 v14, v46, v14, v15
	s_branch .LBB13_430
.LBB13_428:                             ;   in Loop: Header=BB13_430 Depth=1
	s_or_b32 exec_lo, exec_lo, s13
	s_delay_alu instid0(SALU_CYCLE_1) | instskip(SKIP_1) | instid1(SALU_CYCLE_1)
	s_and_not1_b32 s7, s10, exec_lo
	s_and_b32 s10, s12, exec_lo
	s_or_b32 s10, s7, s10
.LBB13_429:                             ;   in Loop: Header=BB13_430 Depth=1
	s_or_b32 exec_lo, exec_lo, s11
	v_dual_add_nc_u32 v19, 1, v15 :: v_dual_cndmask_b32 v13, v13, v15, s10
	s_delay_alu instid0(VALU_DEP_1) | instskip(NEXT) | instid1(VALU_DEP_1)
	v_cndmask_b32_e64 v17, v19, v17, s10
	v_cmp_ge_i32_e64 s7, v17, v13
	s_or_b32 s9, s7, s9
	s_delay_alu instid0(SALU_CYCLE_1)
	s_and_not1_b32 exec_lo, exec_lo, s9
	s_cbranch_execz .LBB13_433
.LBB13_430:                             ; =>This Inner Loop Header: Depth=1
	v_sub_nc_u32_e32 v15, v13, v17
	s_or_b32 s10, s10, exec_lo
	s_mov_b32 s11, exec_lo
	s_delay_alu instid0(VALU_DEP_1) | instskip(NEXT) | instid1(VALU_DEP_1)
	v_lshrrev_b32_e32 v15, 1, v15
	v_add_nc_u32_e32 v15, v15, v17
	s_delay_alu instid0(VALU_DEP_1) | instskip(SKIP_1) | instid1(VALU_DEP_2)
	v_not_b32_e32 v20, v15
	v_lshl_add_u32 v19, v15, 3, v12
	v_lshl_add_u32 v20, v20, 3, v14
	ds_load_b32 v21, v19
	ds_load_b32 v22, v20
	s_wait_dscnt 0x0
	v_cmpx_nlt_f32_e32 v22, v21
	s_cbranch_execz .LBB13_429
; %bb.431:                              ;   in Loop: Header=BB13_430 Depth=1
	s_mov_b32 s12, 0
	s_mov_b32 s13, exec_lo
	v_cmpx_eq_f32_e32 v22, v21
	s_cbranch_execz .LBB13_428
; %bb.432:                              ;   in Loop: Header=BB13_430 Depth=1
	ds_load_b32 v20, v20 offset:4
	ds_load_b32 v19, v19 offset:4
	s_wait_dscnt 0x0
	v_cmp_lt_f32_e64 s7, v20, v19
	s_and_b32 s12, s7, exec_lo
	s_branch .LBB13_428
.LBB13_433:
	s_or_b32 exec_lo, exec_lo, s9
.LBB13_434:
	s_delay_alu instid0(SALU_CYCLE_1) | instskip(SKIP_2) | instid1(VALU_DEP_2)
	s_or_b32 exec_lo, exec_lo, s8
	v_add_nc_u32_e32 v13, v49, v18
	v_lshl_add_u32 v18, v17, 3, v12
	v_sub_nc_u32_e32 v51, v13, v17
	s_delay_alu instid0(VALU_DEP_1) | instskip(SKIP_4) | instid1(SALU_CYCLE_1)
	v_lshl_add_u32 v20, v51, 3, v46
	v_cmp_le_i32_e64 s7, v50, v51
	ds_load_b64 v[12:13], v18
	ds_load_b64 v[14:15], v20
	s_and_saveexec_b32 s8, s7
	s_xor_b32 s7, exec_lo, s8
	s_delay_alu instid0(SALU_CYCLE_1)
	s_or_saveexec_b32 s10, s7
	v_add_nc_u32_e32 v52, v17, v16
	s_mov_b32 s9, 0
	s_xor_b32 exec_lo, exec_lo, s10
	s_cbranch_execz .LBB13_440
; %bb.435:
	s_delay_alu instid0(VALU_DEP_1)
	v_cmp_gt_i32_e64 s7, v49, v52
	s_wait_dscnt 0x0
	v_cmp_nlt_f32_e64 s8, v14, v12
	s_and_b32 s9, s7, s8
	s_mov_b32 s7, -1
	s_and_saveexec_b32 s8, s9
	s_cbranch_execz .LBB13_439
; %bb.436:
	s_mov_b32 s9, 0
	s_mov_b32 s11, exec_lo
	v_cmpx_eq_f32_e32 v14, v12
; %bb.437:
	v_cmp_lt_f32_e64 s7, v15, v13
	s_and_b32 s9, s7, exec_lo
; %bb.438:
	s_or_b32 exec_lo, exec_lo, s11
	s_delay_alu instid0(SALU_CYCLE_1)
	s_or_not1_b32 s7, s9, exec_lo
.LBB13_439:
	s_or_b32 exec_lo, exec_lo, s8
	s_delay_alu instid0(SALU_CYCLE_1)
	s_and_b32 s9, s7, exec_lo
.LBB13_440:
	s_or_b32 exec_lo, exec_lo, s10
	s_xor_b32 s7, s9, -1
                                        ; implicit-def: $vgpr16_vgpr17
	s_delay_alu instid0(SALU_CYCLE_1) | instskip(NEXT) | instid1(SALU_CYCLE_1)
	s_and_saveexec_b32 s8, s7
	s_xor_b32 s7, exec_lo, s8
; %bb.441:
	ds_load_b64 v[16:17], v18 offset:8
                                        ; implicit-def: $vgpr20
; %bb.442:
	s_or_saveexec_b32 s7, s7
	s_wait_dscnt 0x0
	v_mov_b64_e32 v[18:19], v[14:15]
	s_xor_b32 exec_lo, exec_lo, s7
; %bb.443:
	ds_load_b64 v[18:19], v20 offset:8
	v_mov_b64_e32 v[16:17], v[12:13]
; %bb.444:
	s_or_b32 exec_lo, exec_lo, s7
	v_dual_add_nc_u32 v20, 1, v51 :: v_dual_add_nc_u32 v21, 1, v52
	s_mov_b32 s10, 0
	s_mov_b32 s11, exec_lo
	s_delay_alu instid0(VALU_DEP_1) | instskip(NEXT) | instid1(VALU_DEP_2)
	v_cndmask_b32_e64 v53, v51, v20, s9
	v_cndmask_b32_e64 v54, v21, v52, s9
	s_delay_alu instid0(VALU_DEP_2)
	v_cmpx_lt_i32_e64 v53, v50
	s_cbranch_execz .LBB13_450
; %bb.445:
	s_delay_alu instid0(VALU_DEP_2)
	v_cmp_lt_i32_e64 s7, v54, v49
	s_wait_dscnt 0x0
	v_cmp_nlt_f32_e64 s8, v18, v16
	s_and_b32 s10, s7, s8
	s_mov_b32 s7, -1
	s_and_saveexec_b32 s8, s10
	s_cbranch_execz .LBB13_449
; %bb.446:
	s_mov_b32 s10, 0
	s_mov_b32 s12, exec_lo
	v_cmpx_eq_f32_e32 v18, v16
; %bb.447:
	v_cmp_lt_f32_e64 s7, v19, v17
	s_and_b32 s10, s7, exec_lo
; %bb.448:
	s_or_b32 exec_lo, exec_lo, s12
	s_delay_alu instid0(SALU_CYCLE_1)
	s_or_not1_b32 s7, s10, exec_lo
.LBB13_449:
	s_or_b32 exec_lo, exec_lo, s8
	s_delay_alu instid0(SALU_CYCLE_1)
	s_and_b32 s10, s7, exec_lo
.LBB13_450:
	s_or_b32 exec_lo, exec_lo, s11
	s_xor_b32 s7, s10, -1
                                        ; implicit-def: $vgpr20_vgpr21
	s_delay_alu instid0(SALU_CYCLE_1) | instskip(NEXT) | instid1(SALU_CYCLE_1)
	s_and_saveexec_b32 s8, s7
	s_xor_b32 s7, exec_lo, s8
; %bb.451:
	v_lshl_add_u32 v20, v54, 3, v46
	ds_load_b64 v[20:21], v20 offset:8
; %bb.452:
	s_or_saveexec_b32 s7, s7
	s_wait_dscnt 0x0
	v_mov_b64_e32 v[22:23], v[18:19]
	s_xor_b32 exec_lo, exec_lo, s7
; %bb.453:
	v_lshl_add_u32 v20, v53, 3, v46
	ds_load_b64 v[22:23], v20 offset:8
	v_mov_b64_e32 v[20:21], v[16:17]
; %bb.454:
	s_or_b32 exec_lo, exec_lo, s7
	v_add_nc_u32_e32 v24, 1, v53
	s_delay_alu instid0(VALU_DEP_1) | instskip(NEXT) | instid1(VALU_DEP_1)
	v_dual_cndmask_b32 v55, v53, v24, s10 :: v_dual_add_nc_u32 v24, 1, v54
	v_cmp_ge_i32_e64 s7, v55, v50
	s_and_saveexec_b32 s8, s7
	s_delay_alu instid0(SALU_CYCLE_1) | instskip(NEXT) | instid1(SALU_CYCLE_1)
	s_xor_b32 s7, exec_lo, s8
	s_or_saveexec_b32 s12, s7
	v_cndmask_b32_e64 v56, v24, v54, s10
	s_mov_b32 s11, 0
	s_xor_b32 exec_lo, exec_lo, s12
	s_cbranch_execz .LBB13_460
; %bb.455:
	s_delay_alu instid0(VALU_DEP_1)
	v_cmp_lt_i32_e64 s7, v56, v49
	s_wait_dscnt 0x0
	v_cmp_nlt_f32_e64 s8, v22, v20
	s_and_b32 s11, s7, s8
	s_mov_b32 s7, -1
	s_and_saveexec_b32 s8, s11
	s_cbranch_execz .LBB13_459
; %bb.456:
	s_mov_b32 s11, 0
	s_mov_b32 s13, exec_lo
	v_cmpx_eq_f32_e32 v22, v20
; %bb.457:
	v_cmp_lt_f32_e64 s7, v23, v21
	s_and_b32 s11, s7, exec_lo
; %bb.458:
	s_or_b32 exec_lo, exec_lo, s13
	s_delay_alu instid0(SALU_CYCLE_1)
	s_or_not1_b32 s7, s11, exec_lo
.LBB13_459:
	s_or_b32 exec_lo, exec_lo, s8
	s_delay_alu instid0(SALU_CYCLE_1)
	s_and_b32 s11, s7, exec_lo
.LBB13_460:
	s_or_b32 exec_lo, exec_lo, s12
	s_xor_b32 s7, s11, -1
                                        ; implicit-def: $vgpr24_vgpr25
	s_delay_alu instid0(SALU_CYCLE_1) | instskip(NEXT) | instid1(SALU_CYCLE_1)
	s_and_saveexec_b32 s8, s7
	s_xor_b32 s7, exec_lo, s8
; %bb.461:
	v_lshl_add_u32 v24, v56, 3, v46
	ds_load_b64 v[24:25], v24 offset:8
; %bb.462:
	s_or_saveexec_b32 s7, s7
	s_wait_dscnt 0x0
	v_mov_b64_e32 v[26:27], v[22:23]
	s_xor_b32 exec_lo, exec_lo, s7
; %bb.463:
	v_lshl_add_u32 v24, v55, 3, v46
	ds_load_b64 v[26:27], v24 offset:8
	v_mov_b64_e32 v[24:25], v[20:21]
; %bb.464:
	s_or_b32 exec_lo, exec_lo, s7
	v_dual_add_nc_u32 v28, 1, v55 :: v_dual_add_nc_u32 v29, 1, v56
	s_mov_b32 s12, 0
	s_mov_b32 s13, exec_lo
	s_delay_alu instid0(VALU_DEP_1) | instskip(NEXT) | instid1(VALU_DEP_2)
	v_cndmask_b32_e64 v57, v55, v28, s11
	v_cndmask_b32_e64 v58, v29, v56, s11
	s_delay_alu instid0(VALU_DEP_2)
	v_cmpx_lt_i32_e64 v57, v50
	s_cbranch_execz .LBB13_470
; %bb.465:
	s_delay_alu instid0(VALU_DEP_2)
	v_cmp_lt_i32_e64 s7, v58, v49
	s_wait_dscnt 0x0
	v_cmp_nlt_f32_e64 s8, v26, v24
	s_and_b32 s12, s7, s8
	s_mov_b32 s7, -1
	s_and_saveexec_b32 s8, s12
	s_cbranch_execz .LBB13_469
; %bb.466:
	s_mov_b32 s12, 0
	s_mov_b32 s14, exec_lo
	v_cmpx_eq_f32_e32 v26, v24
; %bb.467:
	v_cmp_lt_f32_e64 s7, v27, v25
	s_and_b32 s12, s7, exec_lo
; %bb.468:
	s_or_b32 exec_lo, exec_lo, s14
	s_delay_alu instid0(SALU_CYCLE_1)
	s_or_not1_b32 s7, s12, exec_lo
.LBB13_469:
	s_or_b32 exec_lo, exec_lo, s8
	s_delay_alu instid0(SALU_CYCLE_1)
	s_and_b32 s12, s7, exec_lo
.LBB13_470:
	s_or_b32 exec_lo, exec_lo, s13
	s_xor_b32 s7, s12, -1
                                        ; implicit-def: $vgpr28_vgpr29
	s_delay_alu instid0(SALU_CYCLE_1) | instskip(NEXT) | instid1(SALU_CYCLE_1)
	s_and_saveexec_b32 s8, s7
	s_xor_b32 s7, exec_lo, s8
; %bb.471:
	v_lshl_add_u32 v28, v58, 3, v46
	ds_load_b64 v[28:29], v28 offset:8
; %bb.472:
	s_or_saveexec_b32 s7, s7
	s_wait_dscnt 0x0
	v_mov_b64_e32 v[30:31], v[26:27]
	s_xor_b32 exec_lo, exec_lo, s7
; %bb.473:
	v_lshl_add_u32 v28, v57, 3, v46
	ds_load_b64 v[30:31], v28 offset:8
	v_mov_b64_e32 v[28:29], v[24:25]
; %bb.474:
	s_or_b32 exec_lo, exec_lo, s7
	v_add_nc_u32_e32 v32, 1, v57
	s_delay_alu instid0(VALU_DEP_1) | instskip(NEXT) | instid1(VALU_DEP_1)
	v_dual_cndmask_b32 v59, v57, v32, s12 :: v_dual_add_nc_u32 v32, 1, v58
	v_cmp_ge_i32_e64 s7, v59, v50
	s_and_saveexec_b32 s8, s7
	s_delay_alu instid0(SALU_CYCLE_1) | instskip(NEXT) | instid1(SALU_CYCLE_1)
	s_xor_b32 s7, exec_lo, s8
	s_or_saveexec_b32 s14, s7
	v_cndmask_b32_e64 v60, v32, v58, s12
	s_mov_b32 s13, 0
	s_xor_b32 exec_lo, exec_lo, s14
	s_cbranch_execz .LBB13_480
; %bb.475:
	s_delay_alu instid0(VALU_DEP_1)
	v_cmp_lt_i32_e64 s7, v60, v49
	s_wait_dscnt 0x0
	v_cmp_nlt_f32_e64 s8, v30, v28
	s_and_b32 s13, s7, s8
	s_mov_b32 s7, -1
	s_and_saveexec_b32 s8, s13
	s_cbranch_execz .LBB13_479
; %bb.476:
	s_mov_b32 s13, 0
	s_mov_b32 s15, exec_lo
	v_cmpx_eq_f32_e32 v30, v28
; %bb.477:
	v_cmp_lt_f32_e64 s7, v31, v29
	s_and_b32 s13, s7, exec_lo
; %bb.478:
	s_or_b32 exec_lo, exec_lo, s15
	s_delay_alu instid0(SALU_CYCLE_1)
	s_or_not1_b32 s7, s13, exec_lo
.LBB13_479:
	s_or_b32 exec_lo, exec_lo, s8
	s_delay_alu instid0(SALU_CYCLE_1)
	s_and_b32 s13, s7, exec_lo
.LBB13_480:
	s_or_b32 exec_lo, exec_lo, s14
	s_xor_b32 s7, s13, -1
                                        ; implicit-def: $vgpr32_vgpr33
	s_delay_alu instid0(SALU_CYCLE_1) | instskip(NEXT) | instid1(SALU_CYCLE_1)
	s_and_saveexec_b32 s8, s7
	s_xor_b32 s7, exec_lo, s8
; %bb.481:
	v_lshl_add_u32 v32, v60, 3, v46
	ds_load_b64 v[32:33], v32 offset:8
; %bb.482:
	s_or_saveexec_b32 s7, s7
	s_wait_dscnt 0x0
	v_mov_b64_e32 v[34:35], v[30:31]
	s_xor_b32 exec_lo, exec_lo, s7
; %bb.483:
	v_lshl_add_u32 v32, v59, 3, v46
	ds_load_b64 v[34:35], v32 offset:8
	v_mov_b64_e32 v[32:33], v[28:29]
; %bb.484:
	s_or_b32 exec_lo, exec_lo, s7
	v_dual_add_nc_u32 v36, 1, v59 :: v_dual_add_nc_u32 v37, 1, v60
	s_mov_b32 s14, 0
	s_mov_b32 s15, exec_lo
	s_delay_alu instid0(VALU_DEP_1) | instskip(NEXT) | instid1(VALU_DEP_2)
	v_cndmask_b32_e64 v61, v59, v36, s13
	v_cndmask_b32_e64 v62, v37, v60, s13
	s_delay_alu instid0(VALU_DEP_2)
	v_cmpx_lt_i32_e64 v61, v50
	s_cbranch_execz .LBB13_490
; %bb.485:
	s_delay_alu instid0(VALU_DEP_2)
	v_cmp_lt_i32_e64 s7, v62, v49
	s_wait_dscnt 0x0
	v_cmp_nlt_f32_e64 s8, v34, v32
	s_and_b32 s14, s7, s8
	s_mov_b32 s7, -1
	s_and_saveexec_b32 s8, s14
	s_cbranch_execz .LBB13_489
; %bb.486:
	s_mov_b32 s14, 0
	s_mov_b32 s16, exec_lo
	v_cmpx_eq_f32_e32 v34, v32
; %bb.487:
	v_cmp_lt_f32_e64 s7, v35, v33
	s_and_b32 s14, s7, exec_lo
; %bb.488:
	s_or_b32 exec_lo, exec_lo, s16
	s_delay_alu instid0(SALU_CYCLE_1)
	s_or_not1_b32 s7, s14, exec_lo
.LBB13_489:
	s_or_b32 exec_lo, exec_lo, s8
	s_delay_alu instid0(SALU_CYCLE_1)
	s_and_b32 s14, s7, exec_lo
.LBB13_490:
	s_or_b32 exec_lo, exec_lo, s15
	s_xor_b32 s7, s14, -1
                                        ; implicit-def: $vgpr38_vgpr39
	s_delay_alu instid0(SALU_CYCLE_1) | instskip(NEXT) | instid1(SALU_CYCLE_1)
	s_and_saveexec_b32 s8, s7
	s_xor_b32 s7, exec_lo, s8
; %bb.491:
	v_lshl_add_u32 v36, v62, 3, v46
	ds_load_b64 v[38:39], v36 offset:8
; %bb.492:
	s_or_saveexec_b32 s7, s7
	s_wait_dscnt 0x0
	v_mov_b64_e32 v[42:43], v[34:35]
	s_xor_b32 exec_lo, exec_lo, s7
; %bb.493:
	v_lshl_add_u32 v36, v61, 3, v46
	v_mov_b64_e32 v[38:39], v[32:33]
	ds_load_b64 v[42:43], v36 offset:8
; %bb.494:
	s_or_b32 exec_lo, exec_lo, s7
	v_add_nc_u32_e32 v36, 1, v61
	s_delay_alu instid0(VALU_DEP_1) | instskip(NEXT) | instid1(VALU_DEP_1)
	v_dual_cndmask_b32 v63, v61, v36, s14 :: v_dual_add_nc_u32 v36, 1, v62
	v_cmp_ge_i32_e64 s7, v63, v50
	s_and_saveexec_b32 s8, s7
	s_delay_alu instid0(SALU_CYCLE_1) | instskip(NEXT) | instid1(SALU_CYCLE_1)
	s_xor_b32 s7, exec_lo, s8
	s_or_saveexec_b32 s16, s7
	v_cndmask_b32_e64 v64, v36, v62, s14
	s_mov_b32 s15, 0
	s_xor_b32 exec_lo, exec_lo, s16
	s_cbranch_execz .LBB13_500
; %bb.495:
	s_delay_alu instid0(VALU_DEP_1)
	v_cmp_lt_i32_e64 s7, v64, v49
	s_wait_dscnt 0x0
	v_cmp_nlt_f32_e64 s8, v42, v38
	s_and_b32 s15, s7, s8
	s_mov_b32 s7, -1
	s_and_saveexec_b32 s8, s15
	s_cbranch_execz .LBB13_499
; %bb.496:
	s_mov_b32 s15, 0
	s_mov_b32 s17, exec_lo
	v_cmpx_eq_f32_e32 v42, v38
; %bb.497:
	v_cmp_lt_f32_e64 s7, v43, v39
	s_and_b32 s15, s7, exec_lo
; %bb.498:
	s_or_b32 exec_lo, exec_lo, s17
	s_delay_alu instid0(SALU_CYCLE_1)
	s_or_not1_b32 s7, s15, exec_lo
.LBB13_499:
	s_or_b32 exec_lo, exec_lo, s8
	s_delay_alu instid0(SALU_CYCLE_1)
	s_and_b32 s15, s7, exec_lo
.LBB13_500:
	s_or_b32 exec_lo, exec_lo, s16
	s_xor_b32 s7, s15, -1
                                        ; implicit-def: $vgpr36_vgpr37
	s_delay_alu instid0(SALU_CYCLE_1) | instskip(NEXT) | instid1(SALU_CYCLE_1)
	s_and_saveexec_b32 s8, s7
	s_xor_b32 s7, exec_lo, s8
; %bb.501:
	v_lshl_add_u32 v36, v64, 3, v46
	ds_load_b64 v[36:37], v36 offset:8
; %bb.502:
	s_or_saveexec_b32 s7, s7
	s_wait_dscnt 0x0
	v_mov_b64_e32 v[40:41], v[42:43]
	s_xor_b32 exec_lo, exec_lo, s7
; %bb.503:
	v_lshl_add_u32 v36, v63, 3, v46
	ds_load_b64 v[40:41], v36 offset:8
	v_mov_b64_e32 v[36:37], v[38:39]
; %bb.504:
	s_or_b32 exec_lo, exec_lo, s7
	v_dual_add_nc_u32 v65, 1, v63 :: v_dual_add_nc_u32 v66, 1, v64
	s_mov_b32 s8, 0
	s_mov_b32 s16, exec_lo
	s_delay_alu instid0(VALU_DEP_1) | instskip(NEXT) | instid1(VALU_DEP_1)
	v_dual_cndmask_b32 v65, v63, v65, s15 :: v_dual_cndmask_b32 v66, v66, v64, s15
	v_cmpx_lt_i32_e64 v65, v50
	s_cbranch_execz .LBB13_510
; %bb.505:
	s_delay_alu instid0(VALU_DEP_2)
	v_cmp_lt_i32_e64 s7, v66, v49
	s_wait_dscnt 0x0
	v_cmp_nlt_f32_e64 s8, v40, v36
	s_and_b32 s17, s7, s8
	s_mov_b32 s7, -1
	s_and_saveexec_b32 s8, s17
	s_cbranch_execz .LBB13_509
; %bb.506:
	s_mov_b32 s17, 0
	s_mov_b32 s18, exec_lo
	v_cmpx_eq_f32_e32 v40, v36
; %bb.507:
	v_cmp_lt_f32_e64 s7, v41, v37
	s_and_b32 s17, s7, exec_lo
; %bb.508:
	s_or_b32 exec_lo, exec_lo, s18
	s_delay_alu instid0(SALU_CYCLE_1)
	s_or_not1_b32 s7, s17, exec_lo
.LBB13_509:
	s_or_b32 exec_lo, exec_lo, s8
	s_delay_alu instid0(SALU_CYCLE_1)
	s_and_b32 s8, s7, exec_lo
.LBB13_510:
	s_or_b32 exec_lo, exec_lo, s16
	v_dual_cndmask_b32 v20, v20, v22, s11 :: v_dual_cndmask_b32 v21, v21, v23, s11
	v_dual_cndmask_b32 v23, v17, v19, s10 :: v_dual_cndmask_b32 v22, v16, v18, s10
	;; [unrolled: 1-line block ×8, first 2 shown]
	v_cndmask_b32_e64 v42, v64, v63, s15
	v_dual_cndmask_b32 v33, v33, v35, s14 :: v_dual_cndmask_b32 v32, v32, v34, s14
	v_cndmask_b32_e64 v34, v62, v61, s14
	; wave barrier
	ds_store_2addr_b64 v47, v[4:5], v[6:7] offset1:1
	ds_store_2addr_b64 v47, v[8:9], v[10:11] offset0:2 offset1:3
	v_lshl_add_u32 v4, v18, 2, v46
	v_min_i32_e32 v16, 0, v44
	v_lshl_add_u32 v5, v17, 2, v46
	v_lshl_add_u32 v8, v27, 2, v46
	v_lshl_add_u32 v9, v26, 2, v46
	v_lshl_add_u32 v17, v30, 2, v46
	; wave barrier
	v_lshl_add_u32 v26, v34, 2, v46
	v_lshl_add_u32 v27, v42, 2, v46
	;; [unrolled: 1-line block ×3, first 2 shown]
	ds_load_b32 v6, v4
	ds_load_b32 v7, v5
	;; [unrolled: 1-line block ×8, first 2 shown]
	v_add_min_i32_e64 v49, 0x80, v16, v44
	v_dual_cndmask_b32 v15, v13, v15, s9 :: v_dual_min_i32 v18, v44, v45
	s_wait_dscnt 0xa
	v_dual_cndmask_b32 v14, v12, v14, s9 :: v_dual_cndmask_b32 v27, v37, v41, s8
	s_delay_alu instid0(VALU_DEP_3)
	v_add_min_i32_e64 v50, 0x80, v49, v44
	; wave barrier
	ds_store_2addr_b64 v48, v[14:15], v[22:23] offset1:1
	ds_store_2addr_b64 v48, v[20:21], v[24:25] offset0:2 offset1:3
	v_dual_sub_nc_u32 v30, v50, v49 :: v_dual_sub_nc_u32 v13, v49, v16
	v_cndmask_b32_e64 v26, v36, v40, s8
	s_mov_b32 s8, exec_lo
	s_delay_alu instid0(VALU_DEP_2)
	v_sub_nc_u32_e32 v12, v18, v30
	v_cmp_ge_i32_e64 s7, v18, v30
	v_min_i32_e32 v13, v18, v13
	ds_store_2addr_b64 v48, v[28:29], v[32:33] offset0:4 offset1:5
	ds_store_2addr_b64 v48, v[38:39], v[26:27] offset0:6 offset1:7
	; wave barrier
	v_cndmask_b32_e64 v17, 0, v12, s7
	v_lshl_add_u32 v12, v16, 3, v46
	s_delay_alu instid0(VALU_DEP_2)
	v_cmpx_lt_i32_e64 v17, v13
	s_cbranch_execz .LBB13_518
; %bb.511:
	v_dual_lshlrev_b32 v14, 3, v49 :: v_dual_lshlrev_b32 v15, 3, v18
	s_mov_b32 s9, 0
                                        ; implicit-def: $sgpr10
	s_delay_alu instid0(VALU_DEP_1)
	v_add3_u32 v14, v46, v14, v15
	s_branch .LBB13_514
.LBB13_512:                             ;   in Loop: Header=BB13_514 Depth=1
	s_or_b32 exec_lo, exec_lo, s13
	s_delay_alu instid0(SALU_CYCLE_1) | instskip(SKIP_1) | instid1(SALU_CYCLE_1)
	s_and_not1_b32 s7, s10, exec_lo
	s_and_b32 s10, s12, exec_lo
	s_or_b32 s10, s7, s10
.LBB13_513:                             ;   in Loop: Header=BB13_514 Depth=1
	s_or_b32 exec_lo, exec_lo, s11
	v_dual_add_nc_u32 v19, 1, v15 :: v_dual_cndmask_b32 v13, v13, v15, s10
	s_delay_alu instid0(VALU_DEP_1) | instskip(NEXT) | instid1(VALU_DEP_1)
	v_cndmask_b32_e64 v17, v19, v17, s10
	v_cmp_ge_i32_e64 s7, v17, v13
	s_or_b32 s9, s7, s9
	s_delay_alu instid0(SALU_CYCLE_1)
	s_and_not1_b32 exec_lo, exec_lo, s9
	s_cbranch_execz .LBB13_517
.LBB13_514:                             ; =>This Inner Loop Header: Depth=1
	v_sub_nc_u32_e32 v15, v13, v17
	s_or_b32 s10, s10, exec_lo
	s_mov_b32 s11, exec_lo
	s_delay_alu instid0(VALU_DEP_1) | instskip(NEXT) | instid1(VALU_DEP_1)
	v_lshrrev_b32_e32 v15, 1, v15
	v_add_nc_u32_e32 v15, v15, v17
	s_delay_alu instid0(VALU_DEP_1) | instskip(SKIP_1) | instid1(VALU_DEP_2)
	v_not_b32_e32 v20, v15
	v_lshl_add_u32 v19, v15, 3, v12
	v_lshl_add_u32 v20, v20, 3, v14
	ds_load_b32 v21, v19
	ds_load_b32 v22, v20
	s_wait_dscnt 0x0
	v_cmpx_nlt_f32_e32 v22, v21
	s_cbranch_execz .LBB13_513
; %bb.515:                              ;   in Loop: Header=BB13_514 Depth=1
	s_mov_b32 s12, 0
	s_mov_b32 s13, exec_lo
	v_cmpx_eq_f32_e32 v22, v21
	s_cbranch_execz .LBB13_512
; %bb.516:                              ;   in Loop: Header=BB13_514 Depth=1
	ds_load_b32 v20, v20 offset:4
	ds_load_b32 v19, v19 offset:4
	s_wait_dscnt 0x0
	v_cmp_lt_f32_e64 s7, v20, v19
	s_and_b32 s12, s7, exec_lo
	s_branch .LBB13_512
.LBB13_517:
	s_or_b32 exec_lo, exec_lo, s9
.LBB13_518:
	s_delay_alu instid0(SALU_CYCLE_1) | instskip(SKIP_2) | instid1(VALU_DEP_2)
	s_or_b32 exec_lo, exec_lo, s8
	v_add_nc_u32_e32 v13, v18, v49
	v_lshl_add_u32 v18, v17, 3, v12
	v_sub_nc_u32_e32 v44, v13, v17
	s_delay_alu instid0(VALU_DEP_1) | instskip(SKIP_4) | instid1(SALU_CYCLE_1)
	v_lshl_add_u32 v20, v44, 3, v46
	v_cmp_le_i32_e64 s7, v50, v44
	ds_load_b64 v[12:13], v18
	ds_load_b64 v[14:15], v20
	s_and_saveexec_b32 s8, s7
	s_xor_b32 s7, exec_lo, s8
	s_delay_alu instid0(SALU_CYCLE_1)
	s_or_saveexec_b32 s10, s7
	v_add_nc_u32_e32 v45, v17, v16
	s_mov_b32 s9, 0
	s_xor_b32 exec_lo, exec_lo, s10
	s_cbranch_execz .LBB13_524
; %bb.519:
	s_delay_alu instid0(VALU_DEP_1)
	v_cmp_gt_i32_e64 s7, v49, v45
	s_wait_dscnt 0x0
	v_cmp_nlt_f32_e64 s8, v14, v12
	s_and_b32 s9, s7, s8
	s_mov_b32 s7, -1
	s_and_saveexec_b32 s8, s9
	s_cbranch_execz .LBB13_523
; %bb.520:
	s_mov_b32 s9, 0
	s_mov_b32 s11, exec_lo
	v_cmpx_eq_f32_e32 v14, v12
; %bb.521:
	v_cmp_lt_f32_e64 s7, v15, v13
	s_and_b32 s9, s7, exec_lo
; %bb.522:
	s_or_b32 exec_lo, exec_lo, s11
	s_delay_alu instid0(SALU_CYCLE_1)
	s_or_not1_b32 s7, s9, exec_lo
.LBB13_523:
	s_or_b32 exec_lo, exec_lo, s8
	s_delay_alu instid0(SALU_CYCLE_1)
	s_and_b32 s9, s7, exec_lo
.LBB13_524:
	s_or_b32 exec_lo, exec_lo, s10
	s_xor_b32 s7, s9, -1
                                        ; implicit-def: $vgpr16_vgpr17
	s_delay_alu instid0(SALU_CYCLE_1) | instskip(NEXT) | instid1(SALU_CYCLE_1)
	s_and_saveexec_b32 s8, s7
	s_xor_b32 s7, exec_lo, s8
; %bb.525:
	ds_load_b64 v[16:17], v18 offset:8
                                        ; implicit-def: $vgpr20
; %bb.526:
	s_or_saveexec_b32 s7, s7
	s_wait_dscnt 0x0
	v_mov_b64_e32 v[18:19], v[14:15]
	s_xor_b32 exec_lo, exec_lo, s7
; %bb.527:
	ds_load_b64 v[18:19], v20 offset:8
	v_mov_b64_e32 v[16:17], v[12:13]
; %bb.528:
	s_or_b32 exec_lo, exec_lo, s7
	v_add_nc_u32_e32 v20, 1, v44
	s_delay_alu instid0(VALU_DEP_1) | instskip(NEXT) | instid1(VALU_DEP_1)
	v_dual_cndmask_b32 v48, v44, v20, s9 :: v_dual_add_nc_u32 v20, 1, v45
	v_cmp_ge_i32_e64 s7, v48, v50
	s_and_saveexec_b32 s8, s7
	s_delay_alu instid0(SALU_CYCLE_1) | instskip(NEXT) | instid1(SALU_CYCLE_1)
	s_xor_b32 s7, exec_lo, s8
	s_or_saveexec_b32 s11, s7
	v_cndmask_b32_e64 v51, v20, v45, s9
	s_mov_b32 s10, 0
	s_xor_b32 exec_lo, exec_lo, s11
	s_cbranch_execz .LBB13_534
; %bb.529:
	s_delay_alu instid0(VALU_DEP_1)
	v_cmp_lt_i32_e64 s7, v51, v49
	s_wait_dscnt 0x0
	v_cmp_nlt_f32_e64 s8, v18, v16
	s_and_b32 s10, s7, s8
	s_mov_b32 s7, -1
	s_and_saveexec_b32 s8, s10
	s_cbranch_execz .LBB13_533
; %bb.530:
	s_mov_b32 s10, 0
	s_mov_b32 s12, exec_lo
	v_cmpx_eq_f32_e32 v18, v16
; %bb.531:
	v_cmp_lt_f32_e64 s7, v19, v17
	s_and_b32 s10, s7, exec_lo
; %bb.532:
	s_or_b32 exec_lo, exec_lo, s12
	s_delay_alu instid0(SALU_CYCLE_1)
	s_or_not1_b32 s7, s10, exec_lo
.LBB13_533:
	s_or_b32 exec_lo, exec_lo, s8
	s_delay_alu instid0(SALU_CYCLE_1)
	s_and_b32 s10, s7, exec_lo
.LBB13_534:
	s_or_b32 exec_lo, exec_lo, s11
	s_xor_b32 s7, s10, -1
                                        ; implicit-def: $vgpr20_vgpr21
	s_delay_alu instid0(SALU_CYCLE_1) | instskip(NEXT) | instid1(SALU_CYCLE_1)
	s_and_saveexec_b32 s8, s7
	s_xor_b32 s7, exec_lo, s8
; %bb.535:
	v_lshl_add_u32 v20, v51, 3, v46
	ds_load_b64 v[20:21], v20 offset:8
; %bb.536:
	s_or_saveexec_b32 s7, s7
	s_wait_dscnt 0x0
	v_mov_b64_e32 v[22:23], v[18:19]
	s_xor_b32 exec_lo, exec_lo, s7
; %bb.537:
	v_lshl_add_u32 v20, v48, 3, v46
	ds_load_b64 v[22:23], v20 offset:8
	v_mov_b64_e32 v[20:21], v[16:17]
; %bb.538:
	s_or_b32 exec_lo, exec_lo, s7
	v_add_nc_u32_e32 v24, 1, v48
	s_delay_alu instid0(VALU_DEP_1) | instskip(NEXT) | instid1(VALU_DEP_1)
	v_dual_cndmask_b32 v52, v48, v24, s10 :: v_dual_add_nc_u32 v24, 1, v51
	v_cmp_ge_i32_e64 s7, v52, v50
	s_and_saveexec_b32 s8, s7
	s_delay_alu instid0(SALU_CYCLE_1) | instskip(NEXT) | instid1(SALU_CYCLE_1)
	s_xor_b32 s7, exec_lo, s8
	s_or_saveexec_b32 s12, s7
	v_cndmask_b32_e64 v53, v24, v51, s10
	s_mov_b32 s11, 0
	s_xor_b32 exec_lo, exec_lo, s12
	s_cbranch_execz .LBB13_544
; %bb.539:
	s_delay_alu instid0(VALU_DEP_1)
	v_cmp_lt_i32_e64 s7, v53, v49
	s_wait_dscnt 0x0
	v_cmp_nlt_f32_e64 s8, v22, v20
	s_and_b32 s11, s7, s8
	s_mov_b32 s7, -1
	s_and_saveexec_b32 s8, s11
	s_cbranch_execz .LBB13_543
; %bb.540:
	s_mov_b32 s11, 0
	s_mov_b32 s13, exec_lo
	v_cmpx_eq_f32_e32 v22, v20
; %bb.541:
	v_cmp_lt_f32_e64 s7, v23, v21
	s_and_b32 s11, s7, exec_lo
; %bb.542:
	s_or_b32 exec_lo, exec_lo, s13
	s_delay_alu instid0(SALU_CYCLE_1)
	s_or_not1_b32 s7, s11, exec_lo
.LBB13_543:
	s_or_b32 exec_lo, exec_lo, s8
	s_delay_alu instid0(SALU_CYCLE_1)
	s_and_b32 s11, s7, exec_lo
.LBB13_544:
	s_or_b32 exec_lo, exec_lo, s12
	s_xor_b32 s7, s11, -1
                                        ; implicit-def: $vgpr24_vgpr25
	s_delay_alu instid0(SALU_CYCLE_1) | instskip(NEXT) | instid1(SALU_CYCLE_1)
	s_and_saveexec_b32 s8, s7
	s_xor_b32 s7, exec_lo, s8
; %bb.545:
	v_lshl_add_u32 v24, v53, 3, v46
	ds_load_b64 v[24:25], v24 offset:8
; %bb.546:
	s_or_saveexec_b32 s7, s7
	s_wait_dscnt 0x0
	v_mov_b64_e32 v[26:27], v[22:23]
	s_xor_b32 exec_lo, exec_lo, s7
; %bb.547:
	v_lshl_add_u32 v24, v52, 3, v46
	ds_load_b64 v[26:27], v24 offset:8
	v_mov_b64_e32 v[24:25], v[20:21]
; %bb.548:
	s_or_b32 exec_lo, exec_lo, s7
	v_add_nc_u32_e32 v28, 1, v52
	s_delay_alu instid0(VALU_DEP_1) | instskip(NEXT) | instid1(VALU_DEP_1)
	v_dual_cndmask_b32 v54, v52, v28, s11 :: v_dual_add_nc_u32 v28, 1, v53
	v_cmp_ge_i32_e64 s7, v54, v50
	s_and_saveexec_b32 s8, s7
	s_delay_alu instid0(SALU_CYCLE_1) | instskip(NEXT) | instid1(SALU_CYCLE_1)
	s_xor_b32 s7, exec_lo, s8
	s_or_saveexec_b32 s13, s7
	v_cndmask_b32_e64 v55, v28, v53, s11
	s_mov_b32 s12, 0
	s_xor_b32 exec_lo, exec_lo, s13
	s_cbranch_execz .LBB13_554
; %bb.549:
	s_delay_alu instid0(VALU_DEP_1)
	v_cmp_lt_i32_e64 s7, v55, v49
	s_wait_dscnt 0x0
	v_cmp_nlt_f32_e64 s8, v26, v24
	s_and_b32 s12, s7, s8
	s_mov_b32 s7, -1
	s_and_saveexec_b32 s8, s12
	s_cbranch_execz .LBB13_553
; %bb.550:
	s_mov_b32 s12, 0
	s_mov_b32 s14, exec_lo
	v_cmpx_eq_f32_e32 v26, v24
; %bb.551:
	v_cmp_lt_f32_e64 s7, v27, v25
	s_and_b32 s12, s7, exec_lo
; %bb.552:
	s_or_b32 exec_lo, exec_lo, s14
	s_delay_alu instid0(SALU_CYCLE_1)
	s_or_not1_b32 s7, s12, exec_lo
.LBB13_553:
	s_or_b32 exec_lo, exec_lo, s8
	s_delay_alu instid0(SALU_CYCLE_1)
	s_and_b32 s12, s7, exec_lo
.LBB13_554:
	s_or_b32 exec_lo, exec_lo, s13
	s_xor_b32 s7, s12, -1
                                        ; implicit-def: $vgpr28_vgpr29
	s_delay_alu instid0(SALU_CYCLE_1) | instskip(NEXT) | instid1(SALU_CYCLE_1)
	s_and_saveexec_b32 s8, s7
	s_xor_b32 s7, exec_lo, s8
; %bb.555:
	v_lshl_add_u32 v28, v55, 3, v46
	ds_load_b64 v[28:29], v28 offset:8
; %bb.556:
	s_or_saveexec_b32 s7, s7
	s_wait_dscnt 0x0
	v_mov_b64_e32 v[30:31], v[26:27]
	s_xor_b32 exec_lo, exec_lo, s7
; %bb.557:
	v_lshl_add_u32 v28, v54, 3, v46
	ds_load_b64 v[30:31], v28 offset:8
	v_mov_b64_e32 v[28:29], v[24:25]
; %bb.558:
	s_or_b32 exec_lo, exec_lo, s7
	v_add_nc_u32_e32 v32, 1, v54
	s_delay_alu instid0(VALU_DEP_1) | instskip(NEXT) | instid1(VALU_DEP_1)
	v_dual_cndmask_b32 v56, v54, v32, s12 :: v_dual_add_nc_u32 v32, 1, v55
	v_cmp_ge_i32_e64 s7, v56, v50
	s_and_saveexec_b32 s8, s7
	s_delay_alu instid0(SALU_CYCLE_1) | instskip(NEXT) | instid1(SALU_CYCLE_1)
	s_xor_b32 s7, exec_lo, s8
	s_or_saveexec_b32 s14, s7
	v_cndmask_b32_e64 v57, v32, v55, s12
	s_mov_b32 s13, 0
	s_xor_b32 exec_lo, exec_lo, s14
	s_cbranch_execz .LBB13_564
; %bb.559:
	s_delay_alu instid0(VALU_DEP_1)
	v_cmp_lt_i32_e64 s7, v57, v49
	s_wait_dscnt 0x0
	v_cmp_nlt_f32_e64 s8, v30, v28
	s_and_b32 s13, s7, s8
	s_mov_b32 s7, -1
	s_and_saveexec_b32 s8, s13
	s_cbranch_execz .LBB13_563
; %bb.560:
	s_mov_b32 s13, 0
	s_mov_b32 s15, exec_lo
	v_cmpx_eq_f32_e32 v30, v28
; %bb.561:
	v_cmp_lt_f32_e64 s7, v31, v29
	s_and_b32 s13, s7, exec_lo
; %bb.562:
	s_or_b32 exec_lo, exec_lo, s15
	s_delay_alu instid0(SALU_CYCLE_1)
	s_or_not1_b32 s7, s13, exec_lo
.LBB13_563:
	s_or_b32 exec_lo, exec_lo, s8
	s_delay_alu instid0(SALU_CYCLE_1)
	s_and_b32 s13, s7, exec_lo
.LBB13_564:
	s_or_b32 exec_lo, exec_lo, s14
	s_xor_b32 s7, s13, -1
                                        ; implicit-def: $vgpr32_vgpr33
	s_delay_alu instid0(SALU_CYCLE_1) | instskip(NEXT) | instid1(SALU_CYCLE_1)
	s_and_saveexec_b32 s8, s7
	s_xor_b32 s7, exec_lo, s8
; %bb.565:
	v_lshl_add_u32 v32, v57, 3, v46
	ds_load_b64 v[32:33], v32 offset:8
; %bb.566:
	s_or_saveexec_b32 s7, s7
	s_wait_dscnt 0x0
	v_mov_b64_e32 v[34:35], v[30:31]
	s_xor_b32 exec_lo, exec_lo, s7
; %bb.567:
	v_lshl_add_u32 v32, v56, 3, v46
	ds_load_b64 v[34:35], v32 offset:8
	v_mov_b64_e32 v[32:33], v[28:29]
; %bb.568:
	s_or_b32 exec_lo, exec_lo, s7
	v_add_nc_u32_e32 v36, 1, v56
	s_delay_alu instid0(VALU_DEP_1) | instskip(NEXT) | instid1(VALU_DEP_1)
	v_dual_cndmask_b32 v58, v56, v36, s13 :: v_dual_add_nc_u32 v36, 1, v57
	v_cmp_ge_i32_e64 s7, v58, v50
	s_and_saveexec_b32 s8, s7
	s_delay_alu instid0(SALU_CYCLE_1) | instskip(NEXT) | instid1(SALU_CYCLE_1)
	s_xor_b32 s7, exec_lo, s8
	s_or_saveexec_b32 s15, s7
	v_cndmask_b32_e64 v59, v36, v57, s13
	s_mov_b32 s14, 0
	s_xor_b32 exec_lo, exec_lo, s15
	s_cbranch_execz .LBB13_574
; %bb.569:
	s_delay_alu instid0(VALU_DEP_1)
	v_cmp_lt_i32_e64 s7, v59, v49
	s_wait_dscnt 0x0
	v_cmp_nlt_f32_e64 s8, v34, v32
	s_and_b32 s14, s7, s8
	s_mov_b32 s7, -1
	s_and_saveexec_b32 s8, s14
	s_cbranch_execz .LBB13_573
; %bb.570:
	s_mov_b32 s14, 0
	s_mov_b32 s16, exec_lo
	v_cmpx_eq_f32_e32 v34, v32
; %bb.571:
	v_cmp_lt_f32_e64 s7, v35, v33
	s_and_b32 s14, s7, exec_lo
; %bb.572:
	s_or_b32 exec_lo, exec_lo, s16
	s_delay_alu instid0(SALU_CYCLE_1)
	s_or_not1_b32 s7, s14, exec_lo
.LBB13_573:
	s_or_b32 exec_lo, exec_lo, s8
	s_delay_alu instid0(SALU_CYCLE_1)
	s_and_b32 s14, s7, exec_lo
.LBB13_574:
	s_or_b32 exec_lo, exec_lo, s15
	s_xor_b32 s7, s14, -1
                                        ; implicit-def: $vgpr36_vgpr37
	s_delay_alu instid0(SALU_CYCLE_1) | instskip(NEXT) | instid1(SALU_CYCLE_1)
	s_and_saveexec_b32 s8, s7
	s_xor_b32 s7, exec_lo, s8
; %bb.575:
	v_lshl_add_u32 v36, v59, 3, v46
	ds_load_b64 v[36:37], v36 offset:8
; %bb.576:
	s_or_saveexec_b32 s7, s7
	s_wait_dscnt 0x0
	v_mov_b64_e32 v[38:39], v[34:35]
	s_xor_b32 exec_lo, exec_lo, s7
; %bb.577:
	v_lshl_add_u32 v36, v58, 3, v46
	ds_load_b64 v[38:39], v36 offset:8
	v_mov_b64_e32 v[36:37], v[32:33]
; %bb.578:
	s_or_b32 exec_lo, exec_lo, s7
	v_add_nc_u32_e32 v40, 1, v58
	s_delay_alu instid0(VALU_DEP_1) | instskip(NEXT) | instid1(VALU_DEP_1)
	v_dual_cndmask_b32 v60, v58, v40, s14 :: v_dual_add_nc_u32 v40, 1, v59
	v_cmp_ge_i32_e64 s7, v60, v50
	s_and_saveexec_b32 s8, s7
	s_delay_alu instid0(SALU_CYCLE_1) | instskip(NEXT) | instid1(SALU_CYCLE_1)
	s_xor_b32 s7, exec_lo, s8
	s_or_saveexec_b32 s16, s7
	v_cndmask_b32_e64 v61, v40, v59, s14
	s_mov_b32 s15, 0
	s_xor_b32 exec_lo, exec_lo, s16
	s_cbranch_execz .LBB13_584
; %bb.579:
	s_delay_alu instid0(VALU_DEP_1)
	v_cmp_lt_i32_e64 s7, v61, v49
	s_wait_dscnt 0x0
	v_cmp_nlt_f32_e64 s8, v38, v36
	s_and_b32 s15, s7, s8
	s_mov_b32 s7, -1
	s_and_saveexec_b32 s8, s15
	s_cbranch_execz .LBB13_583
; %bb.580:
	s_mov_b32 s15, 0
	s_mov_b32 s17, exec_lo
	v_cmpx_eq_f32_e32 v38, v36
; %bb.581:
	v_cmp_lt_f32_e64 s7, v39, v37
	s_and_b32 s15, s7, exec_lo
; %bb.582:
	s_or_b32 exec_lo, exec_lo, s17
	s_delay_alu instid0(SALU_CYCLE_1)
	s_or_not1_b32 s7, s15, exec_lo
.LBB13_583:
	s_or_b32 exec_lo, exec_lo, s8
	s_delay_alu instid0(SALU_CYCLE_1)
	s_and_b32 s15, s7, exec_lo
.LBB13_584:
	s_or_b32 exec_lo, exec_lo, s16
	s_xor_b32 s7, s15, -1
                                        ; implicit-def: $vgpr40_vgpr41
	s_delay_alu instid0(SALU_CYCLE_1) | instskip(NEXT) | instid1(SALU_CYCLE_1)
	s_and_saveexec_b32 s8, s7
	s_xor_b32 s7, exec_lo, s8
; %bb.585:
	v_lshl_add_u32 v40, v61, 3, v46
	ds_load_b64 v[40:41], v40 offset:8
; %bb.586:
	s_or_saveexec_b32 s7, s7
	s_wait_dscnt 0x0
	v_mov_b64_e32 v[42:43], v[38:39]
	s_xor_b32 exec_lo, exec_lo, s7
; %bb.587:
	v_lshl_add_u32 v40, v60, 3, v46
	ds_load_b64 v[42:43], v40 offset:8
	v_mov_b64_e32 v[40:41], v[36:37]
; %bb.588:
	s_or_b32 exec_lo, exec_lo, s7
	v_dual_add_nc_u32 v62, 1, v60 :: v_dual_add_nc_u32 v63, 1, v61
	s_mov_b32 s8, 0
	s_mov_b32 s16, exec_lo
	s_delay_alu instid0(VALU_DEP_1) | instskip(NEXT) | instid1(VALU_DEP_1)
	v_dual_cndmask_b32 v62, v60, v62, s15 :: v_dual_cndmask_b32 v63, v63, v61, s15
	v_cmpx_lt_i32_e64 v62, v50
	s_cbranch_execz .LBB13_594
; %bb.589:
	s_delay_alu instid0(VALU_DEP_2)
	v_cmp_lt_i32_e64 s7, v63, v49
	s_wait_dscnt 0x0
	v_cmp_nlt_f32_e64 s8, v42, v40
	s_and_b32 s17, s7, s8
	s_mov_b32 s7, -1
	s_and_saveexec_b32 s8, s17
	s_cbranch_execz .LBB13_593
; %bb.590:
	s_mov_b32 s17, 0
	s_mov_b32 s18, exec_lo
	v_cmpx_eq_f32_e32 v42, v40
; %bb.591:
	v_cmp_lt_f32_e64 s7, v43, v41
	s_and_b32 s17, s7, exec_lo
; %bb.592:
	s_or_b32 exec_lo, exec_lo, s18
	s_delay_alu instid0(SALU_CYCLE_1)
	s_or_not1_b32 s7, s17, exec_lo
.LBB13_593:
	s_or_b32 exec_lo, exec_lo, s8
	s_delay_alu instid0(SALU_CYCLE_1)
	s_and_b32 s8, s7, exec_lo
.LBB13_594:
	s_or_b32 exec_lo, exec_lo, s16
	v_cndmask_b32_e64 v44, v45, v44, s9
	v_cndmask_b32_e64 v48, v51, v48, s10
	v_dual_cndmask_b32 v52, v53, v52, s11 :: v_dual_cndmask_b32 v45, v63, v62, s8
	v_dual_cndmask_b32 v56, v57, v56, s13 :: v_dual_cndmask_b32 v54, v55, v54, s12
	;; [unrolled: 1-line block ×3, first 2 shown]
	; wave barrier
	ds_store_2addr_b64 v47, v[6:7], v[10:11] offset1:1
	ds_store_2addr_b64 v47, v[4:5], v[8:9] offset0:2 offset1:3
	v_lshl_add_u32 v4, v44, 2, v46
	v_lshl_add_u32 v5, v48, 2, v46
	;; [unrolled: 1-line block ×5, first 2 shown]
	; wave barrier
	v_lshl_add_u32 v47, v50, 2, v46
	v_lshl_add_u32 v48, v49, 2, v46
	;; [unrolled: 1-line block ×3, first 2 shown]
	ds_load_b32 v11, v4
	ds_load_b32 v10, v5
	;; [unrolled: 1-line block ×8, first 2 shown]
	s_and_saveexec_b32 s7, vcc_lo
	s_cbranch_execnz .LBB13_611
; %bb.595:
	s_or_b32 exec_lo, exec_lo, s7
	s_and_saveexec_b32 s7, s0
	s_cbranch_execnz .LBB13_612
.LBB13_596:
	s_or_b32 exec_lo, exec_lo, s7
	s_and_saveexec_b32 s7, s1
	s_cbranch_execnz .LBB13_613
.LBB13_597:
	s_or_b32 exec_lo, exec_lo, s7
	s_and_saveexec_b32 s7, s2
	s_cbranch_execnz .LBB13_614
.LBB13_598:
	s_or_b32 exec_lo, exec_lo, s7
	s_and_saveexec_b32 s7, s3
	s_cbranch_execnz .LBB13_615
.LBB13_599:
	s_or_b32 exec_lo, exec_lo, s7
	s_and_saveexec_b32 s7, s4
	s_cbranch_execnz .LBB13_616
.LBB13_600:
	s_or_b32 exec_lo, exec_lo, s7
	s_and_saveexec_b32 s7, s5
	s_cbranch_execnz .LBB13_617
.LBB13_601:
	s_or_b32 exec_lo, exec_lo, s7
	s_and_saveexec_b32 s7, s6
	s_cbranch_execnz .LBB13_618
.LBB13_602:
	s_or_b32 exec_lo, exec_lo, s7
	s_and_saveexec_b32 s7, vcc_lo
	s_cbranch_execnz .LBB13_619
.LBB13_603:
	s_or_b32 exec_lo, exec_lo, s7
	s_and_saveexec_b32 s7, s0
	s_cbranch_execnz .LBB13_620
.LBB13_604:
	s_or_b32 exec_lo, exec_lo, s7
	s_and_saveexec_b32 s0, s1
	s_cbranch_execnz .LBB13_621
.LBB13_605:
	s_or_b32 exec_lo, exec_lo, s0
	s_and_saveexec_b32 s0, s2
	s_cbranch_execnz .LBB13_622
.LBB13_606:
	s_or_b32 exec_lo, exec_lo, s0
	s_and_saveexec_b32 s0, s3
	s_cbranch_execnz .LBB13_623
.LBB13_607:
	s_or_b32 exec_lo, exec_lo, s0
	s_and_saveexec_b32 s0, s4
	s_cbranch_execnz .LBB13_624
.LBB13_608:
	s_or_b32 exec_lo, exec_lo, s0
	s_and_saveexec_b32 s0, s5
	s_cbranch_execnz .LBB13_625
.LBB13_609:
	s_or_b32 exec_lo, exec_lo, s0
	s_and_saveexec_b32 s0, s6
	s_cbranch_execnz .LBB13_626
.LBB13_610:
	s_sendmsg sendmsg(MSG_DEALLOC_VGPRS)
	s_endpgm
.LBB13_611:
	v_dual_cndmask_b32 v12, v12, v14, s9 :: v_dual_cndmask_b32 v13, v13, v15, s9
	global_store_b64 v[0:1], v[12:13], off
	s_wait_xcnt 0x0
	s_or_b32 exec_lo, exec_lo, s7
	s_and_saveexec_b32 s7, s0
	s_cbranch_execz .LBB13_596
.LBB13_612:
	v_dual_cndmask_b32 v12, v16, v18, s10 :: v_dual_cndmask_b32 v13, v17, v19, s10
	global_store_b64 v[0:1], v[12:13], off offset:8
	s_wait_xcnt 0x0
	s_or_b32 exec_lo, exec_lo, s7
	s_and_saveexec_b32 s7, s1
	s_cbranch_execz .LBB13_597
.LBB13_613:
	v_dual_cndmask_b32 v12, v20, v22, s11 :: v_dual_cndmask_b32 v13, v21, v23, s11
	global_store_b64 v[0:1], v[12:13], off offset:16
	s_wait_xcnt 0x0
	s_or_b32 exec_lo, exec_lo, s7
	s_and_saveexec_b32 s7, s2
	s_cbranch_execz .LBB13_598
.LBB13_614:
	v_dual_cndmask_b32 v12, v24, v26, s12 :: v_dual_cndmask_b32 v13, v25, v27, s12
	global_store_b64 v[0:1], v[12:13], off offset:24
	s_wait_xcnt 0x0
	s_or_b32 exec_lo, exec_lo, s7
	s_and_saveexec_b32 s7, s3
	s_cbranch_execz .LBB13_599
.LBB13_615:
	v_dual_cndmask_b32 v12, v28, v30, s13 :: v_dual_cndmask_b32 v13, v29, v31, s13
	global_store_b64 v[0:1], v[12:13], off offset:32
	s_wait_xcnt 0x0
	s_or_b32 exec_lo, exec_lo, s7
	s_and_saveexec_b32 s7, s4
	s_cbranch_execz .LBB13_600
.LBB13_616:
	v_dual_cndmask_b32 v12, v32, v34, s14 :: v_dual_cndmask_b32 v13, v33, v35, s14
	global_store_b64 v[0:1], v[12:13], off offset:40
	s_wait_xcnt 0x0
	s_or_b32 exec_lo, exec_lo, s7
	s_and_saveexec_b32 s7, s5
	s_cbranch_execz .LBB13_601
.LBB13_617:
	v_dual_cndmask_b32 v12, v36, v38, s15 :: v_dual_cndmask_b32 v13, v37, v39, s15
	global_store_b64 v[0:1], v[12:13], off offset:48
	s_wait_xcnt 0x0
	s_or_b32 exec_lo, exec_lo, s7
	s_and_saveexec_b32 s7, s6
	s_cbranch_execz .LBB13_602
.LBB13_618:
	s_wait_dscnt 0xa
	v_dual_cndmask_b32 v13, v41, v43, s8 :: v_dual_cndmask_b32 v12, v40, v42, s8
	global_store_b64 v[0:1], v[12:13], off offset:56
	s_wait_xcnt 0x0
	s_or_b32 exec_lo, exec_lo, s7
	s_and_saveexec_b32 s7, vcc_lo
	s_cbranch_execz .LBB13_603
.LBB13_619:
	s_wait_dscnt 0x7
	global_store_b32 v[2:3], v11, off
	s_wait_xcnt 0x0
	s_or_b32 exec_lo, exec_lo, s7
	s_and_saveexec_b32 s7, s0
	s_cbranch_execz .LBB13_604
.LBB13_620:
	s_wait_dscnt 0x6
	global_store_b32 v[2:3], v10, off offset:4
	s_wait_xcnt 0x0
	s_or_b32 exec_lo, exec_lo, s7
	s_and_saveexec_b32 s0, s1
	s_cbranch_execz .LBB13_605
.LBB13_621:
	s_wait_dscnt 0x5
	global_store_b32 v[2:3], v9, off offset:8
	s_wait_xcnt 0x0
	s_or_b32 exec_lo, exec_lo, s0
	s_and_saveexec_b32 s0, s2
	s_cbranch_execz .LBB13_606
.LBB13_622:
	s_wait_dscnt 0x4
	global_store_b32 v[2:3], v8, off offset:12
	s_wait_xcnt 0x0
	s_or_b32 exec_lo, exec_lo, s0
	s_and_saveexec_b32 s0, s3
	s_cbranch_execz .LBB13_607
.LBB13_623:
	s_wait_dscnt 0x3
	global_store_b32 v[2:3], v7, off offset:16
	s_wait_xcnt 0x0
	s_or_b32 exec_lo, exec_lo, s0
	s_and_saveexec_b32 s0, s4
	s_cbranch_execz .LBB13_608
.LBB13_624:
	s_wait_dscnt 0x2
	global_store_b32 v[2:3], v6, off offset:20
	s_wait_xcnt 0x0
	s_or_b32 exec_lo, exec_lo, s0
	s_and_saveexec_b32 s0, s5
	s_cbranch_execz .LBB13_609
.LBB13_625:
	s_wait_dscnt 0x1
	global_store_b32 v[2:3], v5, off offset:24
	s_wait_xcnt 0x0
	s_or_b32 exec_lo, exec_lo, s0
	s_and_saveexec_b32 s0, s6
	s_cbranch_execz .LBB13_610
.LBB13_626:
	s_wait_dscnt 0x0
	global_store_b32 v[2:3], v4, off offset:28
	s_sendmsg sendmsg(MSG_DEALLOC_VGPRS)
	s_endpgm
	.section	.rodata,"a",@progbits
	.p2align	6, 0x0
	.amdhsa_kernel _Z26sort_keys_values_segmentedILj256ELj32ELj8ELb0EN10test_utils16custom_test_typeIfEEiNS0_4lessEEvPT3_PT4_PKjT5_
		.amdhsa_group_segment_fixed_size 16448
		.amdhsa_private_segment_fixed_size 0
		.amdhsa_kernarg_size 28
		.amdhsa_user_sgpr_count 2
		.amdhsa_user_sgpr_dispatch_ptr 0
		.amdhsa_user_sgpr_queue_ptr 0
		.amdhsa_user_sgpr_kernarg_segment_ptr 1
		.amdhsa_user_sgpr_dispatch_id 0
		.amdhsa_user_sgpr_kernarg_preload_length 0
		.amdhsa_user_sgpr_kernarg_preload_offset 0
		.amdhsa_user_sgpr_private_segment_size 0
		.amdhsa_wavefront_size32 1
		.amdhsa_uses_dynamic_stack 0
		.amdhsa_enable_private_segment 0
		.amdhsa_system_sgpr_workgroup_id_x 1
		.amdhsa_system_sgpr_workgroup_id_y 0
		.amdhsa_system_sgpr_workgroup_id_z 0
		.amdhsa_system_sgpr_workgroup_info 0
		.amdhsa_system_vgpr_workitem_id 0
		.amdhsa_next_free_vgpr 67
		.amdhsa_next_free_sgpr 19
		.amdhsa_named_barrier_count 0
		.amdhsa_reserve_vcc 1
		.amdhsa_float_round_mode_32 0
		.amdhsa_float_round_mode_16_64 0
		.amdhsa_float_denorm_mode_32 3
		.amdhsa_float_denorm_mode_16_64 3
		.amdhsa_fp16_overflow 0
		.amdhsa_memory_ordered 1
		.amdhsa_forward_progress 1
		.amdhsa_inst_pref_size 136
		.amdhsa_round_robin_scheduling 0
		.amdhsa_exception_fp_ieee_invalid_op 0
		.amdhsa_exception_fp_denorm_src 0
		.amdhsa_exception_fp_ieee_div_zero 0
		.amdhsa_exception_fp_ieee_overflow 0
		.amdhsa_exception_fp_ieee_underflow 0
		.amdhsa_exception_fp_ieee_inexact 0
		.amdhsa_exception_int_div_zero 0
	.end_amdhsa_kernel
	.section	.text._Z26sort_keys_values_segmentedILj256ELj32ELj8ELb0EN10test_utils16custom_test_typeIfEEiNS0_4lessEEvPT3_PT4_PKjT5_,"axG",@progbits,_Z26sort_keys_values_segmentedILj256ELj32ELj8ELb0EN10test_utils16custom_test_typeIfEEiNS0_4lessEEvPT3_PT4_PKjT5_,comdat
.Lfunc_end13:
	.size	_Z26sort_keys_values_segmentedILj256ELj32ELj8ELb0EN10test_utils16custom_test_typeIfEEiNS0_4lessEEvPT3_PT4_PKjT5_, .Lfunc_end13-_Z26sort_keys_values_segmentedILj256ELj32ELj8ELb0EN10test_utils16custom_test_typeIfEEiNS0_4lessEEvPT3_PT4_PKjT5_
                                        ; -- End function
	.set _Z26sort_keys_values_segmentedILj256ELj32ELj8ELb0EN10test_utils16custom_test_typeIfEEiNS0_4lessEEvPT3_PT4_PKjT5_.num_vgpr, 67
	.set _Z26sort_keys_values_segmentedILj256ELj32ELj8ELb0EN10test_utils16custom_test_typeIfEEiNS0_4lessEEvPT3_PT4_PKjT5_.num_agpr, 0
	.set _Z26sort_keys_values_segmentedILj256ELj32ELj8ELb0EN10test_utils16custom_test_typeIfEEiNS0_4lessEEvPT3_PT4_PKjT5_.numbered_sgpr, 19
	.set _Z26sort_keys_values_segmentedILj256ELj32ELj8ELb0EN10test_utils16custom_test_typeIfEEiNS0_4lessEEvPT3_PT4_PKjT5_.num_named_barrier, 0
	.set _Z26sort_keys_values_segmentedILj256ELj32ELj8ELb0EN10test_utils16custom_test_typeIfEEiNS0_4lessEEvPT3_PT4_PKjT5_.private_seg_size, 0
	.set _Z26sort_keys_values_segmentedILj256ELj32ELj8ELb0EN10test_utils16custom_test_typeIfEEiNS0_4lessEEvPT3_PT4_PKjT5_.uses_vcc, 1
	.set _Z26sort_keys_values_segmentedILj256ELj32ELj8ELb0EN10test_utils16custom_test_typeIfEEiNS0_4lessEEvPT3_PT4_PKjT5_.uses_flat_scratch, 0
	.set _Z26sort_keys_values_segmentedILj256ELj32ELj8ELb0EN10test_utils16custom_test_typeIfEEiNS0_4lessEEvPT3_PT4_PKjT5_.has_dyn_sized_stack, 0
	.set _Z26sort_keys_values_segmentedILj256ELj32ELj8ELb0EN10test_utils16custom_test_typeIfEEiNS0_4lessEEvPT3_PT4_PKjT5_.has_recursion, 0
	.set _Z26sort_keys_values_segmentedILj256ELj32ELj8ELb0EN10test_utils16custom_test_typeIfEEiNS0_4lessEEvPT3_PT4_PKjT5_.has_indirect_call, 0
	.section	.AMDGPU.csdata,"",@progbits
; Kernel info:
; codeLenInByte = 17300
; TotalNumSgprs: 21
; NumVgprs: 67
; ScratchSize: 0
; MemoryBound: 0
; FloatMode: 240
; IeeeMode: 1
; LDSByteSize: 16448 bytes/workgroup (compile time only)
; SGPRBlocks: 0
; VGPRBlocks: 4
; NumSGPRsForWavesPerEU: 21
; NumVGPRsForWavesPerEU: 67
; NamedBarCnt: 0
; Occupancy: 12
; WaveLimiterHint : 0
; COMPUTE_PGM_RSRC2:SCRATCH_EN: 0
; COMPUTE_PGM_RSRC2:USER_SGPR: 2
; COMPUTE_PGM_RSRC2:TRAP_HANDLER: 0
; COMPUTE_PGM_RSRC2:TGID_X_EN: 1
; COMPUTE_PGM_RSRC2:TGID_Y_EN: 0
; COMPUTE_PGM_RSRC2:TGID_Z_EN: 0
; COMPUTE_PGM_RSRC2:TIDIG_COMP_CNT: 0
	.section	.text._Z26sort_keys_values_segmentedILj256ELj32ELj4ELb0EN10test_utils16custom_test_typeIfEEiNS0_4lessEEvPT3_PT4_PKjT5_,"axG",@progbits,_Z26sort_keys_values_segmentedILj256ELj32ELj4ELb0EN10test_utils16custom_test_typeIfEEiNS0_4lessEEvPT3_PT4_PKjT5_,comdat
	.protected	_Z26sort_keys_values_segmentedILj256ELj32ELj4ELb0EN10test_utils16custom_test_typeIfEEiNS0_4lessEEvPT3_PT4_PKjT5_ ; -- Begin function _Z26sort_keys_values_segmentedILj256ELj32ELj4ELb0EN10test_utils16custom_test_typeIfEEiNS0_4lessEEvPT3_PT4_PKjT5_
	.globl	_Z26sort_keys_values_segmentedILj256ELj32ELj4ELb0EN10test_utils16custom_test_typeIfEEiNS0_4lessEEvPT3_PT4_PKjT5_
	.p2align	8
	.type	_Z26sort_keys_values_segmentedILj256ELj32ELj4ELb0EN10test_utils16custom_test_typeIfEEiNS0_4lessEEvPT3_PT4_PKjT5_,@function
_Z26sort_keys_values_segmentedILj256ELj32ELj4ELb0EN10test_utils16custom_test_typeIfEEiNS0_4lessEEvPT3_PT4_PKjT5_: ; @_Z26sort_keys_values_segmentedILj256ELj32ELj4ELb0EN10test_utils16custom_test_typeIfEEiNS0_4lessEEvPT3_PT4_PKjT5_
; %bb.0:
	s_load_b64 s[2:3], s[0:1], 0x10
	s_bfe_u32 s4, ttmp6, 0x4000c
	s_and_b32 s5, ttmp6, 15
	s_add_co_i32 s4, s4, 1
	s_getreg_b32 s6, hwreg(HW_REG_IB_STS2, 6, 4)
	s_mul_i32 s4, ttmp9, s4
	v_lshrrev_b32_e32 v42, 5, v0
	s_add_co_i32 s5, s5, s4
	s_cmp_eq_u32 s6, 0
	v_mbcnt_lo_u32_b32 v6, -1, 0
	s_cselect_b32 s4, ttmp9, s5
	v_mov_b32_e32 v1, 0
	v_lshl_or_b32 v0, s4, 3, v42
	s_load_b128 s[4:7], s[0:1], 0x0
	v_dual_lshlrev_b32 v4, 5, v6 :: v_dual_lshlrev_b32 v41, 2, v6
	s_delay_alu instid0(VALU_DEP_3)
	v_mov_b32_e32 v5, v1
	v_mov_b64_e32 v[20:21], 0
	v_mov_b64_e32 v[28:29], 0
	s_wait_kmcnt 0x0
	global_load_b32 v40, v0, s[2:3] scale_offset
	s_wait_xcnt 0x0
	v_lshlrev_b32_e32 v0, 7, v0
	s_delay_alu instid0(VALU_DEP_1) | instskip(NEXT) | instid1(VALU_DEP_1)
	v_lshl_add_u64 v[2:3], v[0:1], 3, s[4:5]
	v_add_nc_u64_e32 v[22:23], v[2:3], v[4:5]
	s_wait_loadcnt 0x0
	v_cmp_lt_u32_e32 vcc_lo, v41, v40
	s_and_saveexec_b32 s0, vcc_lo
	s_cbranch_execz .LBB14_2
; %bb.1:
	global_load_b64 v[28:29], v[22:23], off
.LBB14_2:
	s_wait_xcnt 0x0
	s_or_b32 exec_lo, exec_lo, s0
	v_or_b32_e32 v30, 1, v41
	s_delay_alu instid0(VALU_DEP_1)
	v_cmp_lt_u32_e64 s0, v30, v40
	s_and_saveexec_b32 s1, s0
	s_cbranch_execz .LBB14_4
; %bb.3:
	global_load_b64 v[20:21], v[22:23], off offset:8
.LBB14_4:
	s_wait_xcnt 0x0
	s_or_b32 exec_lo, exec_lo, s1
	v_dual_mov_b32 v4, 0 :: v_dual_bitop2_b32 v15, 2, v41 bitop3:0x54
	v_dual_mov_b32 v12, 0 :: v_dual_mov_b32 v13, 0
	s_delay_alu instid0(VALU_DEP_2)
	v_cmp_lt_u32_e64 s1, v15, v40
	s_and_saveexec_b32 s2, s1
	s_cbranch_execz .LBB14_6
; %bb.5:
	global_load_b64 v[12:13], v[22:23], off offset:16
.LBB14_6:
	s_wait_xcnt 0x0
	s_or_b32 exec_lo, exec_lo, s2
	v_dual_mov_b32 v5, 0 :: v_dual_bitop2_b32 v6, 3, v41 bitop3:0x54
	s_delay_alu instid0(VALU_DEP_1)
	v_cmp_lt_u32_e64 s2, v6, v40
	s_and_saveexec_b32 s3, s2
	s_cbranch_execz .LBB14_8
; %bb.7:
	global_load_b64 v[4:5], v[22:23], off offset:24
.LBB14_8:
	s_wait_xcnt 0x0
	s_or_b32 exec_lo, exec_lo, s3
	v_lshl_add_u64 v[0:1], v[0:1], 2, s[6:7]
	v_dual_mov_b32 v27, 0 :: v_dual_lshlrev_b32 v26, 2, v41
	v_mov_b32_e32 v16, 0
	s_delay_alu instid0(VALU_DEP_2)
	v_add_nc_u64_e32 v[24:25], v[0:1], v[26:27]
	s_and_saveexec_b32 s3, vcc_lo
	s_cbranch_execz .LBB14_10
; %bb.9:
	global_load_b32 v16, v[24:25], off
.LBB14_10:
	s_wait_xcnt 0x0
	s_or_b32 exec_lo, exec_lo, s3
	s_mov_b32 s3, 0
	s_delay_alu instid0(SALU_CYCLE_1) | instskip(SKIP_2) | instid1(VALU_DEP_2)
	v_dual_mov_b32 v17, s3 :: v_dual_mov_b32 v18, s3
	v_mov_b32_e32 v19, s3
	s_wait_loadcnt 0x0
	v_mov_b64_e32 v[0:1], v[16:17]
	v_mov_b64_e32 v[8:9], v[16:17]
	s_delay_alu instid0(VALU_DEP_3)
	v_mov_b64_e32 v[2:3], v[18:19]
	v_mov_b64_e32 v[10:11], v[18:19]
	s_and_saveexec_b32 s4, s0
	s_cbranch_execz .LBB14_12
; %bb.11:
	global_load_b32 v17, v[24:25], off offset:4
	v_dual_mov_b32 v18, s3 :: v_dual_mov_b32 v19, s3
	s_wait_loadcnt 0x0
	v_mov_b64_e32 v[0:1], v[16:17]
	v_mov_b64_e32 v[8:9], v[16:17]
	s_delay_alu instid0(VALU_DEP_3)
	v_mov_b64_e32 v[2:3], v[18:19]
	v_mov_b64_e32 v[10:11], v[18:19]
	v_mov_b32_e32 v27, v17
.LBB14_12:
	s_or_b32 exec_lo, exec_lo, s4
	v_dual_mov_b32 v7, 0 :: v_dual_mov_b32 v14, 0
	s_and_saveexec_b32 s3, s1
	s_cbranch_execz .LBB14_14
; %bb.13:
	global_load_b32 v14, v[24:25], off offset:8
	v_mov_b64_e32 v[0:1], v[8:9]
	s_mov_b32 s4, 0
	v_mov_b64_e32 v[2:3], v[10:11]
	s_wait_loadcnt 0x0
	v_dual_mov_b32 v3, s4 :: v_dual_mov_b32 v2, v14
.LBB14_14:
	s_or_b32 exec_lo, exec_lo, s3
	s_and_saveexec_b32 s3, s2
	s_cbranch_execz .LBB14_16
; %bb.15:
	global_load_b32 v3, v[24:25], off offset:12
	s_wait_loadcnt 0x0
	v_mov_b32_e32 v7, v3
.LBB14_16:
	s_or_b32 exec_lo, exec_lo, s3
	s_get_pc_i64 s[6:7]
	s_add_nc_u64 s[6:7], s[6:7], _ZN9sort_lastIN10test_utils4lessENS0_16custom_test_typeIfEEE5valueE@rel64+4
	s_load_b64 s[4:5], s[6:7], 0x0
	s_wait_xcnt 0x0
	s_mov_b32 s6, exec_lo
	s_wait_kmcnt 0x0
	v_mov_b64_e32 v[38:39], s[4:5]
	v_dual_mov_b32 v17, s4 :: v_dual_mov_b32 v34, s5
	v_cmpx_lt_i32_e64 v30, v40
	s_cbranch_execz .LBB14_22
; %bb.17:
	s_mov_b32 s8, -1
	s_mov_b32 s7, exec_lo
	v_cmpx_nlt_f32_e32 s4, v20
	s_cbranch_execz .LBB14_21
; %bb.18:
	s_mov_b32 s8, 0
	s_mov_b32 s9, exec_lo
	v_cmpx_eq_f32_e32 s4, v20
; %bb.19:
	v_cmp_lt_f32_e64 s3, s5, v21
	s_and_b32 s8, s3, exec_lo
; %bb.20:
	s_or_b32 exec_lo, exec_lo, s9
	s_delay_alu instid0(SALU_CYCLE_1)
	s_or_not1_b32 s8, s8, exec_lo
.LBB14_21:
	s_or_b32 exec_lo, exec_lo, s7
	v_mov_b64_e32 v[38:39], v[20:21]
	v_cndmask_b32_e64 v17, s4, v20, s8
	v_cndmask_b32_e64 v34, s5, v21, s8
.LBB14_22:
	s_or_b32 exec_lo, exec_lo, s6
	s_delay_alu instid0(VALU_DEP_1)
	v_dual_mov_b32 v35, v17 :: v_dual_mov_b32 v36, v34
	s_mov_b32 s4, exec_lo
	v_cmpx_lt_i32_e64 v15, v40
	s_cbranch_execz .LBB14_28
; %bb.23:
	s_mov_b32 s6, -1
	s_mov_b32 s5, exec_lo
	v_cmpx_nlt_f32_e32 v17, v12
	s_cbranch_execz .LBB14_27
; %bb.24:
	s_mov_b32 s6, 0
	s_mov_b32 s7, exec_lo
	v_cmpx_eq_f32_e32 v17, v12
; %bb.25:
	v_cmp_lt_f32_e64 s3, v34, v13
	s_and_b32 s6, s3, exec_lo
; %bb.26:
	s_or_b32 exec_lo, exec_lo, s7
	s_delay_alu instid0(SALU_CYCLE_1)
	s_or_not1_b32 s6, s6, exec_lo
.LBB14_27:
	s_or_b32 exec_lo, exec_lo, s5
	v_dual_cndmask_b32 v17, v17, v12, s6 :: v_dual_cndmask_b32 v34, v34, v13, s6
	v_dual_mov_b32 v35, v12 :: v_dual_mov_b32 v36, v13
.LBB14_28:
	s_or_b32 exec_lo, exec_lo, s4
	v_cmp_lt_i32_e64 s3, v6, v40
	v_cmp_ge_i32_e64 s4, v41, v40
                                        ; implicit-def: $vgpr30_vgpr31
                                        ; implicit-def: $vgpr32_vgpr33
	s_delay_alu instid0(VALU_DEP_2) | instskip(SKIP_1) | instid1(SALU_CYCLE_1)
	v_cndmask_b32_e64 v37, v17, v4, s3
	s_and_saveexec_b32 s5, s4
	s_xor_b32 s4, exec_lo, s5
; %bb.29:
	v_dual_mov_b32 v30, v29 :: v_dual_mov_b32 v31, v38
	v_mov_b32_e32 v32, v39
                                        ; implicit-def: $vgpr16
                                        ; implicit-def: $vgpr8_vgpr9_vgpr10_vgpr11
                                        ; implicit-def: $vgpr14
                                        ; implicit-def: $vgpr7
                                        ; implicit-def: $vgpr38_vgpr39
; %bb.30:
	s_or_saveexec_b32 s6, s4
	v_cndmask_b32_e64 v43, v34, v5, s3
	s_xor_b32 exec_lo, exec_lo, s6
	s_cbranch_execz .LBB14_48
; %bb.31:
	v_cmp_eq_f32_e64 s4, v38, v28
	v_cmp_lt_f32_e64 s5, v39, v29
	v_mov_b64_e32 v[20:21], v[18:19]
	v_cmp_lt_f32_e64 s3, v38, v28
	v_mov_b64_e32 v[18:19], v[16:17]
	v_dual_mov_b32 v32, v39 :: v_dual_mov_b32 v31, v38
	v_mov_b32_e32 v5, v16
	s_and_b32 s4, s4, s5
	s_delay_alu instid0(SALU_CYCLE_1) | instskip(NEXT) | instid1(SALU_CYCLE_1)
	s_or_b32 s4, s3, s4
	s_and_saveexec_b32 s3, s4
	s_cbranch_execz .LBB14_33
; %bb.32:
	v_dual_mov_b32 v12, v27 :: v_dual_mov_b32 v13, v16
	v_dual_mov_b32 v15, v7 :: v_dual_mov_b32 v32, v29
	;; [unrolled: 1-line block ×3, first 2 shown]
	s_delay_alu instid0(VALU_DEP_3) | instskip(SKIP_1) | instid1(VALU_DEP_4)
	v_mov_b64_e32 v[0:1], v[12:13]
	v_mov_b64_e32 v[8:9], v[12:13]
	;; [unrolled: 1-line block ×7, first 2 shown]
	v_mov_b32_e32 v27, v16
.LBB14_33:
	s_or_b32 exec_lo, exec_lo, s3
	v_cmp_lt_f32_e64 s5, v37, v35
	s_mov_b32 s7, exec_lo
	v_cmpx_nlt_f32_e32 v37, v35
; %bb.34:
	v_cmp_eq_f32_e64 s3, v37, v35
	v_cmp_lt_f32_e64 s4, v43, v36
	s_and_b32 s3, s3, s4
	s_and_not1_b32 s4, s5, exec_lo
	s_and_b32 s3, s3, exec_lo
	s_delay_alu instid0(SALU_CYCLE_1)
	s_or_b32 s5, s4, s3
; %bb.35:
	s_or_b32 exec_lo, exec_lo, s7
	v_dual_mov_b32 v38, v43 :: v_dual_mov_b32 v17, v37
	v_mov_b32_e32 v6, v14
	s_and_saveexec_b32 s3, s5
	s_cbranch_execz .LBB14_37
; %bb.36:
	v_mov_b64_e32 v[0:1], v[8:9]
	v_mov_b64_e32 v[2:3], v[10:11]
	v_dual_mov_b32 v2, v7 :: v_dual_mov_b32 v3, v14
	v_dual_mov_b32 v38, v36 :: v_dual_mov_b32 v17, v35
	;; [unrolled: 1-line block ×4, first 2 shown]
.LBB14_37:
	s_or_b32 exec_lo, exec_lo, s3
	s_delay_alu instid0(VALU_DEP_1) | instskip(SKIP_2) | instid1(VALU_DEP_1)
	v_mov_b32_e32 v19, v6
	s_mov_b32 s4, -1
	s_mov_b32 s5, exec_lo
	v_mov_b64_e32 v[12:13], v[18:19]
	v_mov_b64_e32 v[14:15], v[20:21]
	v_cmpx_nlt_f32_e32 v35, v31
	s_xor_b32 s5, exec_lo, s5
; %bb.38:
	v_cmp_eq_f32_e64 s3, v35, v31
	v_cmp_lt_f32_e64 s4, v36, v32
	v_mov_b64_e32 v[14:15], v[10:11]
	v_mov_b64_e32 v[12:13], v[8:9]
	s_and_b32 s3, s3, s4
	s_delay_alu instid0(SALU_CYCLE_1)
	s_or_not1_b32 s4, s3, exec_lo
; %bb.39:
	s_or_b32 exec_lo, exec_lo, s5
	v_dual_mov_b32 v16, v36 :: v_dual_mov_b32 v39, v35
	v_mov_b32_e32 v4, v27
	s_and_saveexec_b32 s3, s4
	s_cbranch_execz .LBB14_41
; %bb.40:
	v_dual_mov_b32 v20, v27 :: v_dual_mov_b32 v21, v7
	v_mov_b64_e32 v[0:1], v[18:19]
	v_dual_mov_b32 v16, v32 :: v_dual_mov_b32 v39, v31
	v_dual_mov_b32 v32, v36 :: v_dual_mov_b32 v31, v35
	s_delay_alu instid0(VALU_DEP_4)
	v_mov_b64_e32 v[2:3], v[20:21]
	v_dual_mov_b32 v4, v6 :: v_dual_mov_b32 v6, v27
.LBB14_41:
	s_or_b32 exec_lo, exec_lo, s3
	s_delay_alu instid0(VALU_DEP_3) | instskip(SKIP_4) | instid1(SALU_CYCLE_1)
	v_cmp_eq_f32_e64 s3, v31, v28
	v_cmp_lt_f32_e64 s4, v32, v29
	v_cmp_lt_f32_e64 s5, v31, v28
	v_mov_b32_e32 v30, v29
	s_and_b32 s3, s3, s4
	s_or_b32 s4, s5, s3
	s_delay_alu instid0(SALU_CYCLE_1)
	s_and_saveexec_b32 s3, s4
	s_cbranch_execz .LBB14_43
; %bb.42:
	v_dual_mov_b32 v33, v28 :: v_dual_mov_b32 v28, v31
	v_mov_b64_e32 v[0:1], v[4:5]
	v_mov_b64_e32 v[14:15], v[6:7]
	;; [unrolled: 1-line block ×3, first 2 shown]
	s_delay_alu instid0(VALU_DEP_4)
	v_mov_b64_e32 v[8:9], v[32:33]
	v_mov_b64_e32 v[2:3], v[6:7]
	;; [unrolled: 1-line block ×4, first 2 shown]
	v_dual_mov_b32 v32, v29 :: v_dual_mov_b32 v4, v5
	v_mov_b64_e32 v[30:31], v[8:9]
.LBB14_43:
	s_or_b32 exec_lo, exec_lo, s3
	v_cmp_eq_f32_e64 s4, v17, v39
	v_cmp_lt_f32_e64 s5, v38, v16
	v_cmp_lt_f32_e64 s3, v17, v39
	v_mov_b64_e32 v[36:37], v[16:17]
	v_mov_b64_e32 v[8:9], v[16:17]
	v_dual_mov_b32 v43, v38 :: v_dual_mov_b32 v35, v39
	v_mov_b32_e32 v19, v6
	s_and_b32 s4, s4, s5
	s_delay_alu instid0(SALU_CYCLE_1) | instskip(NEXT) | instid1(SALU_CYCLE_1)
	s_or_b32 s4, s3, s4
	s_and_saveexec_b32 s3, s4
	s_cbranch_execz .LBB14_45
; %bb.44:
	v_dual_mov_b32 v14, v7 :: v_dual_mov_b32 v15, v6
	v_mov_b64_e32 v[0:1], v[12:13]
	v_mov_b64_e32 v[36:37], v[38:39]
	;; [unrolled: 1-line block ×3, first 2 shown]
	v_dual_mov_b32 v43, v16 :: v_dual_mov_b32 v35, v17
	v_mov_b64_e32 v[2:3], v[14:15]
	v_dual_mov_b32 v19, v7 :: v_dual_mov_b32 v7, v6
	v_dual_mov_b32 v16, v38 :: v_dual_mov_b32 v17, v39
.LBB14_45:
	s_or_b32 exec_lo, exec_lo, s3
	v_cmp_eq_f32_e64 s3, v35, v31
	s_delay_alu instid0(VALU_DEP_2) | instskip(SKIP_2) | instid1(SALU_CYCLE_1)
	v_cmp_lt_f32_e64 s4, v16, v32
	v_cmp_lt_f32_e64 s5, v35, v31
	s_and_b32 s3, s3, s4
	s_or_b32 s4, s5, s3
	s_delay_alu instid0(SALU_CYCLE_1)
	s_and_saveexec_b32 s3, s4
	s_cbranch_execz .LBB14_47
; %bb.46:
	v_dual_mov_b32 v34, v30 :: v_dual_mov_b32 v33, v17
	v_dual_mov_b32 v20, v4 :: v_dual_mov_b32 v21, v7
	v_mov_b64_e32 v[0:1], v[18:19]
	s_delay_alu instid0(VALU_DEP_3)
	v_mov_b64_e32 v[4:5], v[34:35]
	v_mov_b32_e32 v35, v31
	v_mov_b64_e32 v[36:37], v[32:33]
	v_mov_b64_e32 v[2:3], v[20:21]
	;; [unrolled: 1-line block ×4, first 2 shown]
.LBB14_47:
	s_or_b32 exec_lo, exec_lo, s3
.LBB14_48:
	s_delay_alu instid0(SALU_CYCLE_1) | instskip(SKIP_4) | instid1(VALU_DEP_2)
	s_or_b32 exec_lo, exec_lo, s6
	v_and_b32_e32 v4, 0x78, v41
	v_mul_u32_u24_e32 v20, 0x408, v42
	s_mov_b32 s5, 0
	s_mov_b32 s4, exec_lo
	v_min_i32_e32 v8, v40, v4
	v_dual_lshlrev_b32 v6, 3, v41 :: v_dual_bitop2_b32 v4, 4, v41 bitop3:0x40
	; wave barrier
	s_delay_alu instid0(VALU_DEP_2) | instskip(NEXT) | instid1(VALU_DEP_2)
	v_add_min_i32_e64 v27, v8, 4, v40
	v_min_i32_e32 v4, v40, v4
	s_delay_alu instid0(VALU_DEP_3)
	v_mad_u32_u24 v21, 0x408, v42, v6
	ds_store_2addr_b32 v21, v30, v31 offset0:1 offset1:2
	ds_store_2addr_b32 v21, v32, v35 offset0:3 offset1:4
	;; [unrolled: 1-line block ×3, first 2 shown]
	v_add_min_i32_e64 v29, v27, 4, v40
	ds_store_2addr_b32 v21, v28, v43 offset1:7
	; wave barrier
	v_dual_sub_nc_u32 v5, v29, v27 :: v_dual_sub_nc_u32 v10, v27, v8
	s_delay_alu instid0(VALU_DEP_1) | instskip(SKIP_1) | instid1(VALU_DEP_1)
	v_sub_nc_u32_e32 v7, v4, v5
	v_cmp_ge_i32_e64 s3, v4, v5
	v_dual_cndmask_b32 v9, 0, v7, s3 :: v_dual_lshlrev_b32 v11, 3, v8
	s_delay_alu instid0(VALU_DEP_4) | instskip(NEXT) | instid1(VALU_DEP_2)
	v_min_i32_e32 v6, v4, v10
	v_mad_u32_u24 v5, 0x408, v42, v11
	s_delay_alu instid0(VALU_DEP_2)
	v_cmpx_lt_i32_e64 v9, v6
	s_cbranch_execz .LBB14_56
; %bb.49:
	v_dual_lshlrev_b32 v7, 3, v27 :: v_dual_lshlrev_b32 v10, 3, v4
                                        ; implicit-def: $sgpr6
	s_delay_alu instid0(VALU_DEP_1)
	v_add3_u32 v7, v20, v7, v10
	s_branch .LBB14_52
.LBB14_50:                              ;   in Loop: Header=BB14_52 Depth=1
	s_or_b32 exec_lo, exec_lo, s9
	s_delay_alu instid0(SALU_CYCLE_1) | instskip(SKIP_1) | instid1(SALU_CYCLE_1)
	s_and_not1_b32 s3, s6, exec_lo
	s_and_b32 s6, s8, exec_lo
	s_or_b32 s6, s3, s6
.LBB14_51:                              ;   in Loop: Header=BB14_52 Depth=1
	s_or_b32 exec_lo, exec_lo, s7
	v_dual_add_nc_u32 v11, 1, v10 :: v_dual_cndmask_b32 v6, v6, v10, s6
	s_delay_alu instid0(VALU_DEP_1) | instskip(NEXT) | instid1(VALU_DEP_1)
	v_cndmask_b32_e64 v9, v11, v9, s6
	v_cmp_ge_i32_e64 s3, v9, v6
	s_or_b32 s5, s3, s5
	s_delay_alu instid0(SALU_CYCLE_1)
	s_and_not1_b32 exec_lo, exec_lo, s5
	s_cbranch_execz .LBB14_55
.LBB14_52:                              ; =>This Inner Loop Header: Depth=1
	v_sub_nc_u32_e32 v10, v6, v9
	s_or_b32 s6, s6, exec_lo
	s_mov_b32 s7, exec_lo
	s_delay_alu instid0(VALU_DEP_1) | instskip(NEXT) | instid1(VALU_DEP_1)
	v_lshrrev_b32_e32 v10, 1, v10
	v_add_nc_u32_e32 v10, v10, v9
	s_delay_alu instid0(VALU_DEP_1) | instskip(SKIP_1) | instid1(VALU_DEP_2)
	v_not_b32_e32 v12, v10
	v_lshl_add_u32 v11, v10, 3, v5
	v_lshl_add_u32 v12, v12, 3, v7
	ds_load_b32 v13, v11
	ds_load_b32 v14, v12
	s_wait_dscnt 0x0
	v_cmpx_nlt_f32_e32 v14, v13
	s_cbranch_execz .LBB14_51
; %bb.53:                               ;   in Loop: Header=BB14_52 Depth=1
	s_mov_b32 s8, 0
	s_mov_b32 s9, exec_lo
	v_cmpx_eq_f32_e32 v14, v13
	s_cbranch_execz .LBB14_50
; %bb.54:                               ;   in Loop: Header=BB14_52 Depth=1
	ds_load_b32 v12, v12 offset:4
	ds_load_b32 v11, v11 offset:4
	s_wait_dscnt 0x0
	v_cmp_lt_f32_e64 s3, v12, v11
	s_and_b32 s8, s3, exec_lo
	s_branch .LBB14_50
.LBB14_55:
	s_or_b32 exec_lo, exec_lo, s5
.LBB14_56:
	s_delay_alu instid0(SALU_CYCLE_1) | instskip(SKIP_2) | instid1(VALU_DEP_2)
	s_or_b32 exec_lo, exec_lo, s4
	v_add_nc_u32_e32 v4, v27, v4
	v_lshl_add_u32 v10, v9, 3, v5
	v_sub_nc_u32_e32 v28, v4, v9
	s_delay_alu instid0(VALU_DEP_1) | instskip(SKIP_4) | instid1(SALU_CYCLE_1)
	v_lshl_add_u32 v12, v28, 3, v20
	v_cmp_le_i32_e64 s3, v29, v28
	ds_load_b64 v[4:5], v10
	ds_load_b64 v[6:7], v12
	s_and_saveexec_b32 s4, s3
	s_xor_b32 s3, exec_lo, s4
	s_delay_alu instid0(SALU_CYCLE_1)
	s_or_saveexec_b32 s6, s3
	v_add_nc_u32_e32 v30, v9, v8
	s_mov_b32 s5, 0
	s_xor_b32 exec_lo, exec_lo, s6
	s_cbranch_execz .LBB14_62
; %bb.57:
	s_delay_alu instid0(VALU_DEP_1)
	v_cmp_gt_i32_e64 s3, v27, v30
	s_wait_dscnt 0x0
	v_cmp_nlt_f32_e64 s4, v6, v4
	s_and_b32 s5, s3, s4
	s_mov_b32 s3, -1
	s_and_saveexec_b32 s4, s5
	s_cbranch_execz .LBB14_61
; %bb.58:
	s_mov_b32 s5, 0
	s_mov_b32 s7, exec_lo
	v_cmpx_eq_f32_e32 v6, v4
; %bb.59:
	v_cmp_lt_f32_e64 s3, v7, v5
	s_and_b32 s5, s3, exec_lo
; %bb.60:
	s_or_b32 exec_lo, exec_lo, s7
	s_delay_alu instid0(SALU_CYCLE_1)
	s_or_not1_b32 s3, s5, exec_lo
.LBB14_61:
	s_or_b32 exec_lo, exec_lo, s4
	s_delay_alu instid0(SALU_CYCLE_1)
	s_and_b32 s5, s3, exec_lo
.LBB14_62:
	s_or_b32 exec_lo, exec_lo, s6
	s_xor_b32 s3, s5, -1
                                        ; implicit-def: $vgpr8_vgpr9
	s_delay_alu instid0(SALU_CYCLE_1) | instskip(NEXT) | instid1(SALU_CYCLE_1)
	s_and_saveexec_b32 s4, s3
	s_xor_b32 s3, exec_lo, s4
; %bb.63:
	ds_load_b64 v[8:9], v10 offset:8
                                        ; implicit-def: $vgpr12
; %bb.64:
	s_or_saveexec_b32 s3, s3
	s_wait_dscnt 0x0
	v_mov_b64_e32 v[10:11], v[6:7]
	s_xor_b32 exec_lo, exec_lo, s3
; %bb.65:
	ds_load_b64 v[10:11], v12 offset:8
	v_mov_b64_e32 v[8:9], v[4:5]
; %bb.66:
	s_or_b32 exec_lo, exec_lo, s3
	v_dual_add_nc_u32 v12, 1, v28 :: v_dual_add_nc_u32 v13, 1, v30
	s_mov_b32 s6, 0
	s_mov_b32 s7, exec_lo
	s_delay_alu instid0(VALU_DEP_1) | instskip(NEXT) | instid1(VALU_DEP_1)
	v_dual_cndmask_b32 v31, v28, v12, s5 :: v_dual_cndmask_b32 v32, v13, v30, s5
	v_cmpx_lt_i32_e64 v31, v29
	s_cbranch_execz .LBB14_72
; %bb.67:
	s_delay_alu instid0(VALU_DEP_2)
	v_cmp_lt_i32_e64 s3, v32, v27
	s_wait_dscnt 0x0
	v_cmp_nlt_f32_e64 s4, v10, v8
	s_and_b32 s6, s3, s4
	s_mov_b32 s3, -1
	s_and_saveexec_b32 s4, s6
	s_cbranch_execz .LBB14_71
; %bb.68:
	s_mov_b32 s6, 0
	s_mov_b32 s8, exec_lo
	v_cmpx_eq_f32_e32 v10, v8
; %bb.69:
	v_cmp_lt_f32_e64 s3, v11, v9
	s_and_b32 s6, s3, exec_lo
; %bb.70:
	s_or_b32 exec_lo, exec_lo, s8
	s_delay_alu instid0(SALU_CYCLE_1)
	s_or_not1_b32 s3, s6, exec_lo
.LBB14_71:
	s_or_b32 exec_lo, exec_lo, s4
	s_delay_alu instid0(SALU_CYCLE_1)
	s_and_b32 s6, s3, exec_lo
.LBB14_72:
	s_or_b32 exec_lo, exec_lo, s7
	s_xor_b32 s3, s6, -1
                                        ; implicit-def: $vgpr12_vgpr13
	s_delay_alu instid0(SALU_CYCLE_1) | instskip(NEXT) | instid1(SALU_CYCLE_1)
	s_and_saveexec_b32 s4, s3
	s_xor_b32 s3, exec_lo, s4
; %bb.73:
	v_lshl_add_u32 v12, v32, 3, v20
	ds_load_b64 v[12:13], v12 offset:8
; %bb.74:
	s_or_saveexec_b32 s3, s3
	s_wait_dscnt 0x0
	v_mov_b64_e32 v[14:15], v[10:11]
	s_xor_b32 exec_lo, exec_lo, s3
; %bb.75:
	v_lshl_add_u32 v12, v31, 3, v20
	ds_load_b64 v[14:15], v12 offset:8
	v_mov_b64_e32 v[12:13], v[8:9]
; %bb.76:
	s_or_b32 exec_lo, exec_lo, s3
	v_add_nc_u32_e32 v16, 1, v31
	s_delay_alu instid0(VALU_DEP_1) | instskip(SKIP_1) | instid1(VALU_DEP_2)
	v_cndmask_b32_e64 v33, v31, v16, s6
	v_add_nc_u32_e32 v16, 1, v32
	v_cmp_ge_i32_e64 s3, v33, v29
	s_and_saveexec_b32 s4, s3
	s_delay_alu instid0(SALU_CYCLE_1) | instskip(NEXT) | instid1(SALU_CYCLE_1)
	s_xor_b32 s3, exec_lo, s4
	s_or_saveexec_b32 s8, s3
	v_cndmask_b32_e64 v34, v16, v32, s6
	s_mov_b32 s7, 0
	s_xor_b32 exec_lo, exec_lo, s8
	s_cbranch_execz .LBB14_82
; %bb.77:
	s_delay_alu instid0(VALU_DEP_1)
	v_cmp_lt_i32_e64 s3, v34, v27
	s_wait_dscnt 0x0
	v_cmp_nlt_f32_e64 s4, v14, v12
	s_and_b32 s7, s3, s4
	s_mov_b32 s3, -1
	s_and_saveexec_b32 s4, s7
	s_cbranch_execz .LBB14_81
; %bb.78:
	s_mov_b32 s7, 0
	s_mov_b32 s9, exec_lo
	v_cmpx_eq_f32_e32 v14, v12
; %bb.79:
	v_cmp_lt_f32_e64 s3, v15, v13
	s_and_b32 s7, s3, exec_lo
; %bb.80:
	s_or_b32 exec_lo, exec_lo, s9
	s_delay_alu instid0(SALU_CYCLE_1)
	s_or_not1_b32 s3, s7, exec_lo
.LBB14_81:
	s_or_b32 exec_lo, exec_lo, s4
	s_delay_alu instid0(SALU_CYCLE_1)
	s_and_b32 s7, s3, exec_lo
.LBB14_82:
	s_or_b32 exec_lo, exec_lo, s8
	s_xor_b32 s3, s7, -1
                                        ; implicit-def: $vgpr16_vgpr17
	s_delay_alu instid0(SALU_CYCLE_1) | instskip(NEXT) | instid1(SALU_CYCLE_1)
	s_and_saveexec_b32 s4, s3
	s_xor_b32 s3, exec_lo, s4
; %bb.83:
	v_lshl_add_u32 v16, v34, 3, v20
	ds_load_b64 v[16:17], v16 offset:8
; %bb.84:
	s_or_saveexec_b32 s3, s3
	s_wait_dscnt 0x0
	v_mov_b64_e32 v[18:19], v[14:15]
	s_xor_b32 exec_lo, exec_lo, s3
; %bb.85:
	v_lshl_add_u32 v16, v33, 3, v20
	ds_load_b64 v[18:19], v16 offset:8
	v_mov_b64_e32 v[16:17], v[12:13]
; %bb.86:
	s_or_b32 exec_lo, exec_lo, s3
	v_dual_add_nc_u32 v35, 1, v33 :: v_dual_add_nc_u32 v36, 1, v34
	s_mov_b32 s4, 0
	s_mov_b32 s8, exec_lo
	s_delay_alu instid0(VALU_DEP_1) | instskip(NEXT) | instid1(VALU_DEP_1)
	v_dual_cndmask_b32 v35, v33, v35, s7 :: v_dual_cndmask_b32 v36, v36, v34, s7
	v_cmpx_lt_i32_e64 v35, v29
	s_cbranch_execz .LBB14_92
; %bb.87:
	s_delay_alu instid0(VALU_DEP_2)
	v_cmp_lt_i32_e64 s3, v36, v27
	s_wait_dscnt 0x0
	v_cmp_nlt_f32_e64 s4, v18, v16
	s_and_b32 s9, s3, s4
	s_mov_b32 s3, -1
	s_and_saveexec_b32 s4, s9
	s_cbranch_execz .LBB14_91
; %bb.88:
	s_mov_b32 s9, 0
	s_mov_b32 s10, exec_lo
	v_cmpx_eq_f32_e32 v18, v16
; %bb.89:
	v_cmp_lt_f32_e64 s3, v19, v17
	s_and_b32 s9, s3, exec_lo
; %bb.90:
	s_or_b32 exec_lo, exec_lo, s10
	s_delay_alu instid0(SALU_CYCLE_1)
	s_or_not1_b32 s3, s9, exec_lo
.LBB14_91:
	s_or_b32 exec_lo, exec_lo, s4
	s_delay_alu instid0(SALU_CYCLE_1)
	s_and_b32 s4, s3, exec_lo
.LBB14_92:
	s_or_b32 exec_lo, exec_lo, s8
	v_dual_cndmask_b32 v14, v12, v14, s7 :: v_dual_cndmask_b32 v15, v13, v15, s7
	v_and_b32_e32 v12, 0x70, v41
	v_dual_cndmask_b32 v28, v30, v28, s5 :: v_dual_sub_nc_u32 v27, v21, v26
	v_dual_cndmask_b32 v13, v34, v33, s7 :: v_dual_cndmask_b32 v29, v32, v31, s6
	s_delay_alu instid0(VALU_DEP_3)
	v_dual_cndmask_b32 v11, v9, v11, s6 :: v_dual_min_i32 v12, v40, v12
	v_cndmask_b32_e64 v30, v36, v35, s4
	; wave barrier
	ds_store_2addr_b64 v27, v[0:1], v[2:3] offset1:1
	v_lshl_add_u32 v0, v28, 2, v20
	v_and_b32_e32 v1, 12, v41
	v_lshl_add_u32 v2, v29, 2, v20
	v_add_min_i32_e64 v27, v12, 8, v40
	v_lshl_add_u32 v3, v13, 2, v20
	v_lshl_add_u32 v29, v30, 2, v20
	; wave barrier
	s_delay_alu instid0(VALU_DEP_3)
	v_dual_sub_nc_u32 v9, v27, v12 :: v_dual_min_i32 v13, v40, v1
	ds_load_b32 v0, v0
	ds_load_b32 v1, v2
	;; [unrolled: 1-line block ×4, first 2 shown]
	v_add_min_i32_e64 v28, v27, 8, v40
	s_wait_dscnt 0x5
	v_dual_cndmask_b32 v6, v4, v6, s5 :: v_dual_cndmask_b32 v17, v17, v19, s4
	v_dual_cndmask_b32 v10, v8, v10, s6 :: v_dual_cndmask_b32 v7, v5, v7, s5
	s_delay_alu instid0(VALU_DEP_3) | instskip(SKIP_2) | instid1(VALU_DEP_2)
	v_dual_sub_nc_u32 v30, v28, v27 :: v_dual_min_i32 v5, v13, v9
	v_cndmask_b32_e64 v16, v16, v18, s4
	s_mov_b32 s4, exec_lo
	v_sub_nc_u32_e32 v4, v13, v30
	v_cmp_ge_i32_e64 s3, v13, v30
	; wave barrier
	ds_store_2addr_b64 v21, v[6:7], v[10:11] offset1:1
	ds_store_2addr_b64 v21, v[14:15], v[16:17] offset0:2 offset1:3
	; wave barrier
	v_cndmask_b32_e64 v8, 0, v4, s3
	v_lshl_add_u32 v4, v12, 3, v20
	s_delay_alu instid0(VALU_DEP_2)
	v_cmpx_lt_i32_e64 v8, v5
	s_cbranch_execz .LBB14_100
; %bb.93:
	v_dual_lshlrev_b32 v6, 3, v27 :: v_dual_lshlrev_b32 v7, 3, v13
	s_mov_b32 s5, 0
                                        ; implicit-def: $sgpr6
	s_delay_alu instid0(VALU_DEP_1)
	v_add3_u32 v6, v20, v6, v7
	s_branch .LBB14_96
.LBB14_94:                              ;   in Loop: Header=BB14_96 Depth=1
	s_or_b32 exec_lo, exec_lo, s9
	s_delay_alu instid0(SALU_CYCLE_1) | instskip(SKIP_1) | instid1(SALU_CYCLE_1)
	s_and_not1_b32 s3, s6, exec_lo
	s_and_b32 s6, s8, exec_lo
	s_or_b32 s6, s3, s6
.LBB14_95:                              ;   in Loop: Header=BB14_96 Depth=1
	s_or_b32 exec_lo, exec_lo, s7
	v_dual_add_nc_u32 v9, 1, v7 :: v_dual_cndmask_b32 v5, v5, v7, s6
	s_delay_alu instid0(VALU_DEP_1) | instskip(NEXT) | instid1(VALU_DEP_1)
	v_cndmask_b32_e64 v8, v9, v8, s6
	v_cmp_ge_i32_e64 s3, v8, v5
	s_or_b32 s5, s3, s5
	s_delay_alu instid0(SALU_CYCLE_1)
	s_and_not1_b32 exec_lo, exec_lo, s5
	s_cbranch_execz .LBB14_99
.LBB14_96:                              ; =>This Inner Loop Header: Depth=1
	v_sub_nc_u32_e32 v7, v5, v8
	s_or_b32 s6, s6, exec_lo
	s_mov_b32 s7, exec_lo
	s_delay_alu instid0(VALU_DEP_1) | instskip(NEXT) | instid1(VALU_DEP_1)
	v_lshrrev_b32_e32 v7, 1, v7
	v_add_nc_u32_e32 v7, v7, v8
	s_delay_alu instid0(VALU_DEP_1) | instskip(SKIP_1) | instid1(VALU_DEP_2)
	v_not_b32_e32 v10, v7
	v_lshl_add_u32 v9, v7, 3, v4
	v_lshl_add_u32 v10, v10, 3, v6
	ds_load_b32 v11, v9
	ds_load_b32 v14, v10
	s_wait_dscnt 0x0
	v_cmpx_nlt_f32_e32 v14, v11
	s_cbranch_execz .LBB14_95
; %bb.97:                               ;   in Loop: Header=BB14_96 Depth=1
	s_mov_b32 s8, 0
	s_mov_b32 s9, exec_lo
	v_cmpx_eq_f32_e32 v14, v11
	s_cbranch_execz .LBB14_94
; %bb.98:                               ;   in Loop: Header=BB14_96 Depth=1
	ds_load_b32 v10, v10 offset:4
	ds_load_b32 v9, v9 offset:4
	s_wait_dscnt 0x0
	v_cmp_lt_f32_e64 s3, v10, v9
	s_and_b32 s8, s3, exec_lo
	s_branch .LBB14_94
.LBB14_99:
	s_or_b32 exec_lo, exec_lo, s5
.LBB14_100:
	s_delay_alu instid0(SALU_CYCLE_1) | instskip(SKIP_2) | instid1(VALU_DEP_2)
	s_or_b32 exec_lo, exec_lo, s4
	v_dual_sub_nc_u32 v26, 0, v26 :: v_dual_add_nc_u32 v5, v27, v13
	v_lshl_add_u32 v10, v8, 3, v4
	v_sub_nc_u32_e32 v29, v5, v8
	s_delay_alu instid0(VALU_DEP_1) | instskip(SKIP_4) | instid1(SALU_CYCLE_1)
	v_lshl_add_u32 v13, v29, 3, v20
	v_cmp_le_i32_e64 s3, v28, v29
	ds_load_b64 v[4:5], v10
	ds_load_b64 v[6:7], v13
	s_and_saveexec_b32 s4, s3
	s_xor_b32 s3, exec_lo, s4
	s_delay_alu instid0(SALU_CYCLE_1)
	s_or_saveexec_b32 s6, s3
	v_add_nc_u32_e32 v30, v8, v12
	s_mov_b32 s5, 0
	s_xor_b32 exec_lo, exec_lo, s6
	s_cbranch_execz .LBB14_106
; %bb.101:
	s_delay_alu instid0(VALU_DEP_1)
	v_cmp_gt_i32_e64 s3, v27, v30
	s_wait_dscnt 0x0
	v_cmp_nlt_f32_e64 s4, v6, v4
	s_and_b32 s5, s3, s4
	s_mov_b32 s3, -1
	s_and_saveexec_b32 s4, s5
	s_cbranch_execz .LBB14_105
; %bb.102:
	s_mov_b32 s5, 0
	s_mov_b32 s7, exec_lo
	v_cmpx_eq_f32_e32 v6, v4
; %bb.103:
	v_cmp_lt_f32_e64 s3, v7, v5
	s_and_b32 s5, s3, exec_lo
; %bb.104:
	s_or_b32 exec_lo, exec_lo, s7
	s_delay_alu instid0(SALU_CYCLE_1)
	s_or_not1_b32 s3, s5, exec_lo
.LBB14_105:
	s_or_b32 exec_lo, exec_lo, s4
	s_delay_alu instid0(SALU_CYCLE_1)
	s_and_b32 s5, s3, exec_lo
.LBB14_106:
	s_or_b32 exec_lo, exec_lo, s6
	s_xor_b32 s3, s5, -1
                                        ; implicit-def: $vgpr8_vgpr9
	s_delay_alu instid0(SALU_CYCLE_1) | instskip(NEXT) | instid1(SALU_CYCLE_1)
	s_and_saveexec_b32 s4, s3
	s_xor_b32 s3, exec_lo, s4
; %bb.107:
	ds_load_b64 v[8:9], v10 offset:8
                                        ; implicit-def: $vgpr13
; %bb.108:
	s_or_saveexec_b32 s3, s3
	s_wait_dscnt 0x0
	v_mov_b64_e32 v[10:11], v[6:7]
	s_xor_b32 exec_lo, exec_lo, s3
; %bb.109:
	ds_load_b64 v[10:11], v13 offset:8
	v_mov_b64_e32 v[8:9], v[4:5]
; %bb.110:
	s_or_b32 exec_lo, exec_lo, s3
	v_dual_add_nc_u32 v12, 1, v29 :: v_dual_add_nc_u32 v13, 1, v30
	s_mov_b32 s6, 0
	s_mov_b32 s7, exec_lo
	s_delay_alu instid0(VALU_DEP_1) | instskip(NEXT) | instid1(VALU_DEP_2)
	v_cndmask_b32_e64 v31, v29, v12, s5
	v_cndmask_b32_e64 v32, v13, v30, s5
	s_delay_alu instid0(VALU_DEP_2)
	v_cmpx_lt_i32_e64 v31, v28
	s_cbranch_execz .LBB14_116
; %bb.111:
	s_delay_alu instid0(VALU_DEP_2)
	v_cmp_lt_i32_e64 s3, v32, v27
	s_wait_dscnt 0x0
	v_cmp_nlt_f32_e64 s4, v10, v8
	s_and_b32 s6, s3, s4
	s_mov_b32 s3, -1
	s_and_saveexec_b32 s4, s6
	s_cbranch_execz .LBB14_115
; %bb.112:
	s_mov_b32 s6, 0
	s_mov_b32 s8, exec_lo
	v_cmpx_eq_f32_e32 v10, v8
; %bb.113:
	v_cmp_lt_f32_e64 s3, v11, v9
	s_and_b32 s6, s3, exec_lo
; %bb.114:
	s_or_b32 exec_lo, exec_lo, s8
	s_delay_alu instid0(SALU_CYCLE_1)
	s_or_not1_b32 s3, s6, exec_lo
.LBB14_115:
	s_or_b32 exec_lo, exec_lo, s4
	s_delay_alu instid0(SALU_CYCLE_1)
	s_and_b32 s6, s3, exec_lo
.LBB14_116:
	s_or_b32 exec_lo, exec_lo, s7
	s_xor_b32 s3, s6, -1
                                        ; implicit-def: $vgpr12_vgpr13
	s_delay_alu instid0(SALU_CYCLE_1) | instskip(NEXT) | instid1(SALU_CYCLE_1)
	s_and_saveexec_b32 s4, s3
	s_xor_b32 s3, exec_lo, s4
; %bb.117:
	v_lshl_add_u32 v12, v32, 3, v20
	ds_load_b64 v[12:13], v12 offset:8
; %bb.118:
	s_or_saveexec_b32 s3, s3
	s_wait_dscnt 0x0
	v_mov_b64_e32 v[14:15], v[10:11]
	s_xor_b32 exec_lo, exec_lo, s3
; %bb.119:
	v_lshl_add_u32 v12, v31, 3, v20
	ds_load_b64 v[14:15], v12 offset:8
	v_mov_b64_e32 v[12:13], v[8:9]
; %bb.120:
	s_or_b32 exec_lo, exec_lo, s3
	v_add_nc_u32_e32 v16, 1, v31
	s_delay_alu instid0(VALU_DEP_1) | instskip(SKIP_1) | instid1(VALU_DEP_2)
	v_cndmask_b32_e64 v33, v31, v16, s6
	v_add_nc_u32_e32 v16, 1, v32
	v_cmp_ge_i32_e64 s3, v33, v28
	s_and_saveexec_b32 s4, s3
	s_delay_alu instid0(SALU_CYCLE_1) | instskip(NEXT) | instid1(SALU_CYCLE_1)
	s_xor_b32 s3, exec_lo, s4
	s_or_saveexec_b32 s8, s3
	v_cndmask_b32_e64 v34, v16, v32, s6
	s_mov_b32 s7, 0
	s_xor_b32 exec_lo, exec_lo, s8
	s_cbranch_execz .LBB14_126
; %bb.121:
	s_delay_alu instid0(VALU_DEP_1)
	v_cmp_lt_i32_e64 s3, v34, v27
	s_wait_dscnt 0x0
	v_cmp_nlt_f32_e64 s4, v14, v12
	s_and_b32 s7, s3, s4
	s_mov_b32 s3, -1
	s_and_saveexec_b32 s4, s7
	s_cbranch_execz .LBB14_125
; %bb.122:
	s_mov_b32 s7, 0
	s_mov_b32 s9, exec_lo
	v_cmpx_eq_f32_e32 v14, v12
; %bb.123:
	v_cmp_lt_f32_e64 s3, v15, v13
	s_and_b32 s7, s3, exec_lo
; %bb.124:
	s_or_b32 exec_lo, exec_lo, s9
	s_delay_alu instid0(SALU_CYCLE_1)
	s_or_not1_b32 s3, s7, exec_lo
.LBB14_125:
	s_or_b32 exec_lo, exec_lo, s4
	s_delay_alu instid0(SALU_CYCLE_1)
	s_and_b32 s7, s3, exec_lo
.LBB14_126:
	s_or_b32 exec_lo, exec_lo, s8
	s_xor_b32 s3, s7, -1
                                        ; implicit-def: $vgpr16_vgpr17
	s_delay_alu instid0(SALU_CYCLE_1) | instskip(NEXT) | instid1(SALU_CYCLE_1)
	s_and_saveexec_b32 s4, s3
	s_xor_b32 s3, exec_lo, s4
; %bb.127:
	v_lshl_add_u32 v16, v34, 3, v20
	ds_load_b64 v[16:17], v16 offset:8
; %bb.128:
	s_or_saveexec_b32 s3, s3
	s_wait_dscnt 0x0
	v_mov_b64_e32 v[18:19], v[14:15]
	s_xor_b32 exec_lo, exec_lo, s3
; %bb.129:
	v_lshl_add_u32 v16, v33, 3, v20
	ds_load_b64 v[18:19], v16 offset:8
	v_mov_b64_e32 v[16:17], v[12:13]
; %bb.130:
	s_or_b32 exec_lo, exec_lo, s3
	v_dual_add_nc_u32 v35, 1, v33 :: v_dual_add_nc_u32 v36, 1, v34
	s_mov_b32 s4, 0
	s_mov_b32 s8, exec_lo
	s_delay_alu instid0(VALU_DEP_1) | instskip(NEXT) | instid1(VALU_DEP_1)
	v_dual_cndmask_b32 v35, v33, v35, s7 :: v_dual_cndmask_b32 v36, v36, v34, s7
	v_cmpx_lt_i32_e64 v35, v28
	s_cbranch_execz .LBB14_136
; %bb.131:
	s_delay_alu instid0(VALU_DEP_2)
	v_cmp_lt_i32_e64 s3, v36, v27
	s_wait_dscnt 0x0
	v_cmp_nlt_f32_e64 s4, v18, v16
	s_and_b32 s9, s3, s4
	s_mov_b32 s3, -1
	s_and_saveexec_b32 s4, s9
	s_cbranch_execz .LBB14_135
; %bb.132:
	s_mov_b32 s9, 0
	s_mov_b32 s10, exec_lo
	v_cmpx_eq_f32_e32 v18, v16
; %bb.133:
	v_cmp_lt_f32_e64 s3, v19, v17
	s_and_b32 s9, s3, exec_lo
; %bb.134:
	s_or_b32 exec_lo, exec_lo, s10
	s_delay_alu instid0(SALU_CYCLE_1)
	s_or_not1_b32 s3, s9, exec_lo
.LBB14_135:
	s_or_b32 exec_lo, exec_lo, s4
	s_delay_alu instid0(SALU_CYCLE_1)
	s_and_b32 s4, s3, exec_lo
.LBB14_136:
	s_or_b32 exec_lo, exec_lo, s8
	v_dual_cndmask_b32 v14, v12, v14, s7 :: v_dual_cndmask_b32 v15, v13, v15, s7
	v_and_b32_e32 v12, 0x60, v41
	v_dual_cndmask_b32 v28, v30, v29, s5 :: v_dual_add_nc_u32 v26, v21, v26
	v_dual_cndmask_b32 v13, v34, v33, s7 :: v_dual_cndmask_b32 v31, v32, v31, s6
	s_delay_alu instid0(VALU_DEP_3)
	v_dual_cndmask_b32 v11, v9, v11, s6 :: v_dual_min_i32 v12, v40, v12
	v_cndmask_b32_e64 v29, v36, v35, s4
	; wave barrier
	ds_store_2addr_b64 v26, v[0:1], v[2:3] offset1:1
	v_lshl_add_u32 v0, v28, 2, v20
	v_and_b32_e32 v1, 28, v41
	v_lshl_add_u32 v2, v31, 2, v20
	v_add_min_i32_e64 v27, v12, 16, v40
	v_lshl_add_u32 v3, v13, 2, v20
	v_lshl_add_u32 v29, v29, 2, v20
	; wave barrier
	s_delay_alu instid0(VALU_DEP_3)
	v_dual_sub_nc_u32 v9, v27, v12 :: v_dual_min_i32 v13, v40, v1
	ds_load_b32 v0, v0
	ds_load_b32 v1, v2
	;; [unrolled: 1-line block ×4, first 2 shown]
	v_add_min_i32_e64 v28, v27, 16, v40
	s_wait_dscnt 0x5
	v_dual_cndmask_b32 v6, v4, v6, s5 :: v_dual_cndmask_b32 v17, v17, v19, s4
	v_dual_cndmask_b32 v10, v8, v10, s6 :: v_dual_cndmask_b32 v7, v5, v7, s5
	s_delay_alu instid0(VALU_DEP_3) | instskip(SKIP_2) | instid1(VALU_DEP_2)
	v_dual_sub_nc_u32 v30, v28, v27 :: v_dual_min_i32 v5, v13, v9
	v_cndmask_b32_e64 v16, v16, v18, s4
	s_mov_b32 s4, exec_lo
	v_sub_nc_u32_e32 v4, v13, v30
	v_cmp_ge_i32_e64 s3, v13, v30
	; wave barrier
	ds_store_2addr_b64 v21, v[6:7], v[10:11] offset1:1
	ds_store_2addr_b64 v21, v[14:15], v[16:17] offset0:2 offset1:3
	; wave barrier
	v_cndmask_b32_e64 v8, 0, v4, s3
	v_lshl_add_u32 v4, v12, 3, v20
	s_delay_alu instid0(VALU_DEP_2)
	v_cmpx_lt_i32_e64 v8, v5
	s_cbranch_execz .LBB14_144
; %bb.137:
	v_dual_lshlrev_b32 v6, 3, v27 :: v_dual_lshlrev_b32 v7, 3, v13
	s_mov_b32 s5, 0
                                        ; implicit-def: $sgpr6
	s_delay_alu instid0(VALU_DEP_1)
	v_add3_u32 v6, v20, v6, v7
	s_branch .LBB14_140
.LBB14_138:                             ;   in Loop: Header=BB14_140 Depth=1
	s_or_b32 exec_lo, exec_lo, s9
	s_delay_alu instid0(SALU_CYCLE_1) | instskip(SKIP_1) | instid1(SALU_CYCLE_1)
	s_and_not1_b32 s3, s6, exec_lo
	s_and_b32 s6, s8, exec_lo
	s_or_b32 s6, s3, s6
.LBB14_139:                             ;   in Loop: Header=BB14_140 Depth=1
	s_or_b32 exec_lo, exec_lo, s7
	v_dual_add_nc_u32 v9, 1, v7 :: v_dual_cndmask_b32 v5, v5, v7, s6
	s_delay_alu instid0(VALU_DEP_1) | instskip(NEXT) | instid1(VALU_DEP_1)
	v_cndmask_b32_e64 v8, v9, v8, s6
	v_cmp_ge_i32_e64 s3, v8, v5
	s_or_b32 s5, s3, s5
	s_delay_alu instid0(SALU_CYCLE_1)
	s_and_not1_b32 exec_lo, exec_lo, s5
	s_cbranch_execz .LBB14_143
.LBB14_140:                             ; =>This Inner Loop Header: Depth=1
	v_sub_nc_u32_e32 v7, v5, v8
	s_or_b32 s6, s6, exec_lo
	s_mov_b32 s7, exec_lo
	s_delay_alu instid0(VALU_DEP_1) | instskip(NEXT) | instid1(VALU_DEP_1)
	v_lshrrev_b32_e32 v7, 1, v7
	v_add_nc_u32_e32 v7, v7, v8
	s_delay_alu instid0(VALU_DEP_1) | instskip(SKIP_1) | instid1(VALU_DEP_2)
	v_not_b32_e32 v10, v7
	v_lshl_add_u32 v9, v7, 3, v4
	v_lshl_add_u32 v10, v10, 3, v6
	ds_load_b32 v11, v9
	ds_load_b32 v14, v10
	s_wait_dscnt 0x0
	v_cmpx_nlt_f32_e32 v14, v11
	s_cbranch_execz .LBB14_139
; %bb.141:                              ;   in Loop: Header=BB14_140 Depth=1
	s_mov_b32 s8, 0
	s_mov_b32 s9, exec_lo
	v_cmpx_eq_f32_e32 v14, v11
	s_cbranch_execz .LBB14_138
; %bb.142:                              ;   in Loop: Header=BB14_140 Depth=1
	ds_load_b32 v10, v10 offset:4
	ds_load_b32 v9, v9 offset:4
	s_wait_dscnt 0x0
	v_cmp_lt_f32_e64 s3, v10, v9
	s_and_b32 s8, s3, exec_lo
	s_branch .LBB14_138
.LBB14_143:
	s_or_b32 exec_lo, exec_lo, s5
.LBB14_144:
	s_delay_alu instid0(SALU_CYCLE_1) | instskip(SKIP_2) | instid1(VALU_DEP_2)
	s_or_b32 exec_lo, exec_lo, s4
	v_add_nc_u32_e32 v5, v27, v13
	v_lshl_add_u32 v10, v8, 3, v4
	v_sub_nc_u32_e32 v29, v5, v8
	s_delay_alu instid0(VALU_DEP_1) | instskip(SKIP_4) | instid1(SALU_CYCLE_1)
	v_lshl_add_u32 v13, v29, 3, v20
	v_cmp_le_i32_e64 s3, v28, v29
	ds_load_b64 v[4:5], v10
	ds_load_b64 v[6:7], v13
	s_and_saveexec_b32 s4, s3
	s_xor_b32 s3, exec_lo, s4
	s_delay_alu instid0(SALU_CYCLE_1)
	s_or_saveexec_b32 s6, s3
	v_add_nc_u32_e32 v30, v8, v12
	s_mov_b32 s5, 0
	s_xor_b32 exec_lo, exec_lo, s6
	s_cbranch_execz .LBB14_150
; %bb.145:
	s_delay_alu instid0(VALU_DEP_1)
	v_cmp_gt_i32_e64 s3, v27, v30
	s_wait_dscnt 0x0
	v_cmp_nlt_f32_e64 s4, v6, v4
	s_and_b32 s5, s3, s4
	s_mov_b32 s3, -1
	s_and_saveexec_b32 s4, s5
	s_cbranch_execz .LBB14_149
; %bb.146:
	s_mov_b32 s5, 0
	s_mov_b32 s7, exec_lo
	v_cmpx_eq_f32_e32 v6, v4
; %bb.147:
	v_cmp_lt_f32_e64 s3, v7, v5
	s_and_b32 s5, s3, exec_lo
; %bb.148:
	s_or_b32 exec_lo, exec_lo, s7
	s_delay_alu instid0(SALU_CYCLE_1)
	s_or_not1_b32 s3, s5, exec_lo
.LBB14_149:
	s_or_b32 exec_lo, exec_lo, s4
	s_delay_alu instid0(SALU_CYCLE_1)
	s_and_b32 s5, s3, exec_lo
.LBB14_150:
	s_or_b32 exec_lo, exec_lo, s6
	s_xor_b32 s3, s5, -1
                                        ; implicit-def: $vgpr8_vgpr9
	s_delay_alu instid0(SALU_CYCLE_1) | instskip(NEXT) | instid1(SALU_CYCLE_1)
	s_and_saveexec_b32 s4, s3
	s_xor_b32 s3, exec_lo, s4
; %bb.151:
	ds_load_b64 v[8:9], v10 offset:8
                                        ; implicit-def: $vgpr13
; %bb.152:
	s_or_saveexec_b32 s3, s3
	s_wait_dscnt 0x0
	v_mov_b64_e32 v[10:11], v[6:7]
	s_xor_b32 exec_lo, exec_lo, s3
; %bb.153:
	ds_load_b64 v[10:11], v13 offset:8
	v_mov_b64_e32 v[8:9], v[4:5]
; %bb.154:
	s_or_b32 exec_lo, exec_lo, s3
	v_dual_add_nc_u32 v12, 1, v29 :: v_dual_add_nc_u32 v13, 1, v30
	s_mov_b32 s6, 0
	s_mov_b32 s7, exec_lo
	s_delay_alu instid0(VALU_DEP_1) | instskip(NEXT) | instid1(VALU_DEP_2)
	v_cndmask_b32_e64 v31, v29, v12, s5
	v_cndmask_b32_e64 v32, v13, v30, s5
	s_delay_alu instid0(VALU_DEP_2)
	v_cmpx_lt_i32_e64 v31, v28
	s_cbranch_execz .LBB14_160
; %bb.155:
	s_delay_alu instid0(VALU_DEP_2)
	v_cmp_lt_i32_e64 s3, v32, v27
	s_wait_dscnt 0x0
	v_cmp_nlt_f32_e64 s4, v10, v8
	s_and_b32 s6, s3, s4
	s_mov_b32 s3, -1
	s_and_saveexec_b32 s4, s6
	s_cbranch_execz .LBB14_159
; %bb.156:
	s_mov_b32 s6, 0
	s_mov_b32 s8, exec_lo
	v_cmpx_eq_f32_e32 v10, v8
; %bb.157:
	v_cmp_lt_f32_e64 s3, v11, v9
	s_and_b32 s6, s3, exec_lo
; %bb.158:
	s_or_b32 exec_lo, exec_lo, s8
	s_delay_alu instid0(SALU_CYCLE_1)
	s_or_not1_b32 s3, s6, exec_lo
.LBB14_159:
	s_or_b32 exec_lo, exec_lo, s4
	s_delay_alu instid0(SALU_CYCLE_1)
	s_and_b32 s6, s3, exec_lo
.LBB14_160:
	s_or_b32 exec_lo, exec_lo, s7
	s_xor_b32 s3, s6, -1
                                        ; implicit-def: $vgpr12_vgpr13
	s_delay_alu instid0(SALU_CYCLE_1) | instskip(NEXT) | instid1(SALU_CYCLE_1)
	s_and_saveexec_b32 s4, s3
	s_xor_b32 s3, exec_lo, s4
; %bb.161:
	v_lshl_add_u32 v12, v32, 3, v20
	ds_load_b64 v[12:13], v12 offset:8
; %bb.162:
	s_or_saveexec_b32 s3, s3
	s_wait_dscnt 0x0
	v_mov_b64_e32 v[14:15], v[10:11]
	s_xor_b32 exec_lo, exec_lo, s3
; %bb.163:
	v_lshl_add_u32 v12, v31, 3, v20
	ds_load_b64 v[14:15], v12 offset:8
	v_mov_b64_e32 v[12:13], v[8:9]
; %bb.164:
	s_or_b32 exec_lo, exec_lo, s3
	v_add_nc_u32_e32 v16, 1, v31
	s_delay_alu instid0(VALU_DEP_1) | instskip(SKIP_1) | instid1(VALU_DEP_2)
	v_cndmask_b32_e64 v33, v31, v16, s6
	v_add_nc_u32_e32 v16, 1, v32
	v_cmp_ge_i32_e64 s3, v33, v28
	s_and_saveexec_b32 s4, s3
	s_delay_alu instid0(SALU_CYCLE_1) | instskip(NEXT) | instid1(SALU_CYCLE_1)
	s_xor_b32 s3, exec_lo, s4
	s_or_saveexec_b32 s8, s3
	v_cndmask_b32_e64 v34, v16, v32, s6
	s_mov_b32 s7, 0
	s_xor_b32 exec_lo, exec_lo, s8
	s_cbranch_execz .LBB14_170
; %bb.165:
	s_delay_alu instid0(VALU_DEP_1)
	v_cmp_lt_i32_e64 s3, v34, v27
	s_wait_dscnt 0x0
	v_cmp_nlt_f32_e64 s4, v14, v12
	s_and_b32 s7, s3, s4
	s_mov_b32 s3, -1
	s_and_saveexec_b32 s4, s7
	s_cbranch_execz .LBB14_169
; %bb.166:
	s_mov_b32 s7, 0
	s_mov_b32 s9, exec_lo
	v_cmpx_eq_f32_e32 v14, v12
; %bb.167:
	v_cmp_lt_f32_e64 s3, v15, v13
	s_and_b32 s7, s3, exec_lo
; %bb.168:
	s_or_b32 exec_lo, exec_lo, s9
	s_delay_alu instid0(SALU_CYCLE_1)
	s_or_not1_b32 s3, s7, exec_lo
.LBB14_169:
	s_or_b32 exec_lo, exec_lo, s4
	s_delay_alu instid0(SALU_CYCLE_1)
	s_and_b32 s7, s3, exec_lo
.LBB14_170:
	s_or_b32 exec_lo, exec_lo, s8
	s_xor_b32 s3, s7, -1
                                        ; implicit-def: $vgpr16_vgpr17
	s_delay_alu instid0(SALU_CYCLE_1) | instskip(NEXT) | instid1(SALU_CYCLE_1)
	s_and_saveexec_b32 s4, s3
	s_xor_b32 s3, exec_lo, s4
; %bb.171:
	v_lshl_add_u32 v16, v34, 3, v20
	ds_load_b64 v[16:17], v16 offset:8
; %bb.172:
	s_or_saveexec_b32 s3, s3
	s_wait_dscnt 0x0
	v_mov_b64_e32 v[18:19], v[14:15]
	s_xor_b32 exec_lo, exec_lo, s3
; %bb.173:
	v_lshl_add_u32 v16, v33, 3, v20
	ds_load_b64 v[18:19], v16 offset:8
	v_mov_b64_e32 v[16:17], v[12:13]
; %bb.174:
	s_or_b32 exec_lo, exec_lo, s3
	v_dual_add_nc_u32 v35, 1, v33 :: v_dual_add_nc_u32 v36, 1, v34
	s_mov_b32 s4, 0
	s_mov_b32 s8, exec_lo
	s_delay_alu instid0(VALU_DEP_1) | instskip(NEXT) | instid1(VALU_DEP_1)
	v_dual_cndmask_b32 v35, v33, v35, s7 :: v_dual_cndmask_b32 v36, v36, v34, s7
	v_cmpx_lt_i32_e64 v35, v28
	s_cbranch_execz .LBB14_180
; %bb.175:
	s_delay_alu instid0(VALU_DEP_2)
	v_cmp_lt_i32_e64 s3, v36, v27
	s_wait_dscnt 0x0
	v_cmp_nlt_f32_e64 s4, v18, v16
	s_and_b32 s9, s3, s4
	s_mov_b32 s3, -1
	s_and_saveexec_b32 s4, s9
	s_cbranch_execz .LBB14_179
; %bb.176:
	s_mov_b32 s9, 0
	s_mov_b32 s10, exec_lo
	v_cmpx_eq_f32_e32 v18, v16
; %bb.177:
	v_cmp_lt_f32_e64 s3, v19, v17
	s_and_b32 s9, s3, exec_lo
; %bb.178:
	s_or_b32 exec_lo, exec_lo, s10
	s_delay_alu instid0(SALU_CYCLE_1)
	s_or_not1_b32 s3, s9, exec_lo
.LBB14_179:
	s_or_b32 exec_lo, exec_lo, s4
	s_delay_alu instid0(SALU_CYCLE_1)
	s_and_b32 s4, s3, exec_lo
.LBB14_180:
	s_or_b32 exec_lo, exec_lo, s8
	v_dual_cndmask_b32 v14, v12, v14, s7 :: v_dual_bitop2_b32 v12, 64, v41 bitop3:0x40
	v_dual_cndmask_b32 v31, v32, v31, s6 :: v_dual_cndmask_b32 v28, v30, v29, s5
	v_dual_cndmask_b32 v15, v13, v15, s7 :: v_dual_cndmask_b32 v13, v34, v33, s7
	s_delay_alu instid0(VALU_DEP_3)
	v_dual_cndmask_b32 v11, v9, v11, s6 :: v_dual_min_i32 v12, v40, v12
	v_cndmask_b32_e64 v29, v36, v35, s4
	; wave barrier
	ds_store_2addr_b64 v26, v[0:1], v[2:3] offset1:1
	v_lshl_add_u32 v0, v28, 2, v20
	v_and_b32_e32 v1, 60, v41
	v_lshl_add_u32 v2, v31, 2, v20
	v_add_min_i32_e64 v27, v12, 32, v40
	v_lshl_add_u32 v3, v13, 2, v20
	v_lshl_add_u32 v29, v29, 2, v20
	; wave barrier
	s_delay_alu instid0(VALU_DEP_3)
	v_dual_sub_nc_u32 v9, v27, v12 :: v_dual_min_i32 v13, v40, v1
	ds_load_b32 v0, v0
	ds_load_b32 v1, v2
	;; [unrolled: 1-line block ×4, first 2 shown]
	v_add_min_i32_e64 v28, v27, 32, v40
	s_wait_dscnt 0x5
	v_dual_cndmask_b32 v6, v4, v6, s5 :: v_dual_cndmask_b32 v17, v17, v19, s4
	v_dual_cndmask_b32 v10, v8, v10, s6 :: v_dual_cndmask_b32 v7, v5, v7, s5
	s_delay_alu instid0(VALU_DEP_3) | instskip(SKIP_2) | instid1(VALU_DEP_2)
	v_dual_sub_nc_u32 v30, v28, v27 :: v_dual_min_i32 v5, v13, v9
	v_cndmask_b32_e64 v16, v16, v18, s4
	s_mov_b32 s4, exec_lo
	v_sub_nc_u32_e32 v4, v13, v30
	v_cmp_ge_i32_e64 s3, v13, v30
	; wave barrier
	ds_store_2addr_b64 v21, v[6:7], v[10:11] offset1:1
	ds_store_2addr_b64 v21, v[14:15], v[16:17] offset0:2 offset1:3
	; wave barrier
	v_cndmask_b32_e64 v8, 0, v4, s3
	v_lshl_add_u32 v4, v12, 3, v20
	s_delay_alu instid0(VALU_DEP_2)
	v_cmpx_lt_i32_e64 v8, v5
	s_cbranch_execz .LBB14_188
; %bb.181:
	v_dual_lshlrev_b32 v6, 3, v27 :: v_dual_lshlrev_b32 v7, 3, v13
	s_mov_b32 s5, 0
                                        ; implicit-def: $sgpr6
	s_delay_alu instid0(VALU_DEP_1)
	v_add3_u32 v6, v20, v6, v7
	s_branch .LBB14_184
.LBB14_182:                             ;   in Loop: Header=BB14_184 Depth=1
	s_or_b32 exec_lo, exec_lo, s9
	s_delay_alu instid0(SALU_CYCLE_1) | instskip(SKIP_1) | instid1(SALU_CYCLE_1)
	s_and_not1_b32 s3, s6, exec_lo
	s_and_b32 s6, s8, exec_lo
	s_or_b32 s6, s3, s6
.LBB14_183:                             ;   in Loop: Header=BB14_184 Depth=1
	s_or_b32 exec_lo, exec_lo, s7
	v_dual_add_nc_u32 v9, 1, v7 :: v_dual_cndmask_b32 v5, v5, v7, s6
	s_delay_alu instid0(VALU_DEP_1) | instskip(NEXT) | instid1(VALU_DEP_1)
	v_cndmask_b32_e64 v8, v9, v8, s6
	v_cmp_ge_i32_e64 s3, v8, v5
	s_or_b32 s5, s3, s5
	s_delay_alu instid0(SALU_CYCLE_1)
	s_and_not1_b32 exec_lo, exec_lo, s5
	s_cbranch_execz .LBB14_187
.LBB14_184:                             ; =>This Inner Loop Header: Depth=1
	v_sub_nc_u32_e32 v7, v5, v8
	s_or_b32 s6, s6, exec_lo
	s_mov_b32 s7, exec_lo
	s_delay_alu instid0(VALU_DEP_1) | instskip(NEXT) | instid1(VALU_DEP_1)
	v_lshrrev_b32_e32 v7, 1, v7
	v_add_nc_u32_e32 v7, v7, v8
	s_delay_alu instid0(VALU_DEP_1) | instskip(SKIP_1) | instid1(VALU_DEP_2)
	v_not_b32_e32 v10, v7
	v_lshl_add_u32 v9, v7, 3, v4
	v_lshl_add_u32 v10, v10, 3, v6
	ds_load_b32 v11, v9
	ds_load_b32 v14, v10
	s_wait_dscnt 0x0
	v_cmpx_nlt_f32_e32 v14, v11
	s_cbranch_execz .LBB14_183
; %bb.185:                              ;   in Loop: Header=BB14_184 Depth=1
	s_mov_b32 s8, 0
	s_mov_b32 s9, exec_lo
	v_cmpx_eq_f32_e32 v14, v11
	s_cbranch_execz .LBB14_182
; %bb.186:                              ;   in Loop: Header=BB14_184 Depth=1
	ds_load_b32 v10, v10 offset:4
	ds_load_b32 v9, v9 offset:4
	s_wait_dscnt 0x0
	v_cmp_lt_f32_e64 s3, v10, v9
	s_and_b32 s8, s3, exec_lo
	s_branch .LBB14_182
.LBB14_187:
	s_or_b32 exec_lo, exec_lo, s5
.LBB14_188:
	s_delay_alu instid0(SALU_CYCLE_1) | instskip(SKIP_2) | instid1(VALU_DEP_2)
	s_or_b32 exec_lo, exec_lo, s4
	v_add_nc_u32_e32 v5, v27, v13
	v_lshl_add_u32 v10, v8, 3, v4
	v_sub_nc_u32_e32 v29, v5, v8
	s_delay_alu instid0(VALU_DEP_1) | instskip(SKIP_4) | instid1(SALU_CYCLE_1)
	v_lshl_add_u32 v13, v29, 3, v20
	v_cmp_le_i32_e64 s3, v28, v29
	ds_load_b64 v[4:5], v10
	ds_load_b64 v[6:7], v13
	s_and_saveexec_b32 s4, s3
	s_xor_b32 s3, exec_lo, s4
	s_delay_alu instid0(SALU_CYCLE_1)
	s_or_saveexec_b32 s6, s3
	v_add_nc_u32_e32 v30, v8, v12
	s_mov_b32 s5, 0
	s_xor_b32 exec_lo, exec_lo, s6
	s_cbranch_execz .LBB14_194
; %bb.189:
	s_delay_alu instid0(VALU_DEP_1)
	v_cmp_gt_i32_e64 s3, v27, v30
	s_wait_dscnt 0x0
	v_cmp_nlt_f32_e64 s4, v6, v4
	s_and_b32 s5, s3, s4
	s_mov_b32 s3, -1
	s_and_saveexec_b32 s4, s5
	s_cbranch_execz .LBB14_193
; %bb.190:
	s_mov_b32 s5, 0
	s_mov_b32 s7, exec_lo
	v_cmpx_eq_f32_e32 v6, v4
; %bb.191:
	v_cmp_lt_f32_e64 s3, v7, v5
	s_and_b32 s5, s3, exec_lo
; %bb.192:
	s_or_b32 exec_lo, exec_lo, s7
	s_delay_alu instid0(SALU_CYCLE_1)
	s_or_not1_b32 s3, s5, exec_lo
.LBB14_193:
	s_or_b32 exec_lo, exec_lo, s4
	s_delay_alu instid0(SALU_CYCLE_1)
	s_and_b32 s5, s3, exec_lo
.LBB14_194:
	s_or_b32 exec_lo, exec_lo, s6
	s_xor_b32 s3, s5, -1
                                        ; implicit-def: $vgpr8_vgpr9
	s_delay_alu instid0(SALU_CYCLE_1) | instskip(NEXT) | instid1(SALU_CYCLE_1)
	s_and_saveexec_b32 s4, s3
	s_xor_b32 s3, exec_lo, s4
; %bb.195:
	ds_load_b64 v[8:9], v10 offset:8
                                        ; implicit-def: $vgpr13
; %bb.196:
	s_or_saveexec_b32 s3, s3
	s_wait_dscnt 0x0
	v_mov_b64_e32 v[10:11], v[6:7]
	s_xor_b32 exec_lo, exec_lo, s3
; %bb.197:
	ds_load_b64 v[10:11], v13 offset:8
	v_mov_b64_e32 v[8:9], v[4:5]
; %bb.198:
	s_or_b32 exec_lo, exec_lo, s3
	v_dual_add_nc_u32 v12, 1, v29 :: v_dual_add_nc_u32 v13, 1, v30
	s_mov_b32 s6, 0
	s_mov_b32 s7, exec_lo
	s_delay_alu instid0(VALU_DEP_1) | instskip(NEXT) | instid1(VALU_DEP_2)
	v_cndmask_b32_e64 v31, v29, v12, s5
	v_cndmask_b32_e64 v32, v13, v30, s5
	s_delay_alu instid0(VALU_DEP_2)
	v_cmpx_lt_i32_e64 v31, v28
	s_cbranch_execz .LBB14_204
; %bb.199:
	s_delay_alu instid0(VALU_DEP_2)
	v_cmp_lt_i32_e64 s3, v32, v27
	s_wait_dscnt 0x0
	v_cmp_nlt_f32_e64 s4, v10, v8
	s_and_b32 s6, s3, s4
	s_mov_b32 s3, -1
	s_and_saveexec_b32 s4, s6
	s_cbranch_execz .LBB14_203
; %bb.200:
	s_mov_b32 s6, 0
	s_mov_b32 s8, exec_lo
	v_cmpx_eq_f32_e32 v10, v8
; %bb.201:
	v_cmp_lt_f32_e64 s3, v11, v9
	s_and_b32 s6, s3, exec_lo
; %bb.202:
	s_or_b32 exec_lo, exec_lo, s8
	s_delay_alu instid0(SALU_CYCLE_1)
	s_or_not1_b32 s3, s6, exec_lo
.LBB14_203:
	s_or_b32 exec_lo, exec_lo, s4
	s_delay_alu instid0(SALU_CYCLE_1)
	s_and_b32 s6, s3, exec_lo
.LBB14_204:
	s_or_b32 exec_lo, exec_lo, s7
	s_xor_b32 s3, s6, -1
                                        ; implicit-def: $vgpr12_vgpr13
	s_delay_alu instid0(SALU_CYCLE_1) | instskip(NEXT) | instid1(SALU_CYCLE_1)
	s_and_saveexec_b32 s4, s3
	s_xor_b32 s3, exec_lo, s4
; %bb.205:
	v_lshl_add_u32 v12, v32, 3, v20
	ds_load_b64 v[12:13], v12 offset:8
; %bb.206:
	s_or_saveexec_b32 s3, s3
	s_wait_dscnt 0x0
	v_mov_b64_e32 v[14:15], v[10:11]
	s_xor_b32 exec_lo, exec_lo, s3
; %bb.207:
	v_lshl_add_u32 v12, v31, 3, v20
	ds_load_b64 v[14:15], v12 offset:8
	v_mov_b64_e32 v[12:13], v[8:9]
; %bb.208:
	s_or_b32 exec_lo, exec_lo, s3
	v_add_nc_u32_e32 v16, 1, v31
	s_delay_alu instid0(VALU_DEP_1) | instskip(SKIP_1) | instid1(VALU_DEP_2)
	v_cndmask_b32_e64 v33, v31, v16, s6
	v_add_nc_u32_e32 v16, 1, v32
	v_cmp_ge_i32_e64 s3, v33, v28
	s_and_saveexec_b32 s4, s3
	s_delay_alu instid0(SALU_CYCLE_1) | instskip(NEXT) | instid1(SALU_CYCLE_1)
	s_xor_b32 s3, exec_lo, s4
	s_or_saveexec_b32 s8, s3
	v_cndmask_b32_e64 v34, v16, v32, s6
	s_mov_b32 s7, 0
	s_xor_b32 exec_lo, exec_lo, s8
	s_cbranch_execz .LBB14_214
; %bb.209:
	s_delay_alu instid0(VALU_DEP_1)
	v_cmp_lt_i32_e64 s3, v34, v27
	s_wait_dscnt 0x0
	v_cmp_nlt_f32_e64 s4, v14, v12
	s_and_b32 s7, s3, s4
	s_mov_b32 s3, -1
	s_and_saveexec_b32 s4, s7
	s_cbranch_execz .LBB14_213
; %bb.210:
	s_mov_b32 s7, 0
	s_mov_b32 s9, exec_lo
	v_cmpx_eq_f32_e32 v14, v12
; %bb.211:
	v_cmp_lt_f32_e64 s3, v15, v13
	s_and_b32 s7, s3, exec_lo
; %bb.212:
	s_or_b32 exec_lo, exec_lo, s9
	s_delay_alu instid0(SALU_CYCLE_1)
	s_or_not1_b32 s3, s7, exec_lo
.LBB14_213:
	s_or_b32 exec_lo, exec_lo, s4
	s_delay_alu instid0(SALU_CYCLE_1)
	s_and_b32 s7, s3, exec_lo
.LBB14_214:
	s_or_b32 exec_lo, exec_lo, s8
	s_xor_b32 s3, s7, -1
                                        ; implicit-def: $vgpr16_vgpr17
	s_delay_alu instid0(SALU_CYCLE_1) | instskip(NEXT) | instid1(SALU_CYCLE_1)
	s_and_saveexec_b32 s4, s3
	s_xor_b32 s3, exec_lo, s4
; %bb.215:
	v_lshl_add_u32 v16, v34, 3, v20
	ds_load_b64 v[16:17], v16 offset:8
; %bb.216:
	s_or_saveexec_b32 s3, s3
	s_wait_dscnt 0x0
	v_mov_b64_e32 v[18:19], v[14:15]
	s_xor_b32 exec_lo, exec_lo, s3
; %bb.217:
	v_lshl_add_u32 v16, v33, 3, v20
	ds_load_b64 v[18:19], v16 offset:8
	v_mov_b64_e32 v[16:17], v[12:13]
; %bb.218:
	s_or_b32 exec_lo, exec_lo, s3
	v_dual_add_nc_u32 v35, 1, v33 :: v_dual_add_nc_u32 v36, 1, v34
	s_mov_b32 s4, 0
	s_mov_b32 s8, exec_lo
	s_delay_alu instid0(VALU_DEP_1) | instskip(NEXT) | instid1(VALU_DEP_1)
	v_dual_cndmask_b32 v35, v33, v35, s7 :: v_dual_cndmask_b32 v36, v36, v34, s7
	v_cmpx_lt_i32_e64 v35, v28
	s_cbranch_execz .LBB14_224
; %bb.219:
	s_delay_alu instid0(VALU_DEP_2)
	v_cmp_lt_i32_e64 s3, v36, v27
	s_wait_dscnt 0x0
	v_cmp_nlt_f32_e64 s4, v18, v16
	s_and_b32 s9, s3, s4
	s_mov_b32 s3, -1
	s_and_saveexec_b32 s4, s9
	s_cbranch_execz .LBB14_223
; %bb.220:
	s_mov_b32 s9, 0
	s_mov_b32 s10, exec_lo
	v_cmpx_eq_f32_e32 v18, v16
; %bb.221:
	v_cmp_lt_f32_e64 s3, v19, v17
	s_and_b32 s9, s3, exec_lo
; %bb.222:
	s_or_b32 exec_lo, exec_lo, s10
	s_delay_alu instid0(SALU_CYCLE_1)
	s_or_not1_b32 s3, s9, exec_lo
.LBB14_223:
	s_or_b32 exec_lo, exec_lo, s4
	s_delay_alu instid0(SALU_CYCLE_1)
	s_and_b32 s4, s3, exec_lo
.LBB14_224:
	s_or_b32 exec_lo, exec_lo, s8
	v_dual_cndmask_b32 v14, v12, v14, s7 :: v_dual_cndmask_b32 v15, v13, v15, s7
	v_dual_cndmask_b32 v28, v30, v29, s5 :: v_dual_min_i32 v12, 0, v40
	v_dual_cndmask_b32 v13, v34, v33, s7 :: v_dual_cndmask_b32 v31, v32, v31, s6
	s_delay_alu instid0(VALU_DEP_2)
	v_add_min_i32_e64 v27, v12, 64, v40
	v_cndmask_b32_e64 v29, v36, v35, s4
	; wave barrier
	ds_store_2addr_b64 v26, v[0:1], v[2:3] offset1:1
	v_lshl_add_u32 v0, v28, 2, v20
	v_lshl_add_u32 v1, v31, 2, v20
	;; [unrolled: 1-line block ×3, first 2 shown]
	v_dual_cndmask_b32 v11, v9, v11, s6 :: v_dual_min_i32 v13, v40, v41
	v_sub_nc_u32_e32 v9, v27, v12
	v_lshl_add_u32 v3, v29, 2, v20
	; wave barrier
	ds_load_b32 v0, v0
	ds_load_b32 v1, v1
	;; [unrolled: 1-line block ×4, first 2 shown]
	v_add_min_i32_e64 v28, v27, 64, v40
	v_dual_cndmask_b32 v6, v4, v6, s5 :: v_dual_cndmask_b32 v7, v5, v7, s5
	v_min_i32_e32 v5, v13, v9
	s_wait_dscnt 0x5
	v_dual_cndmask_b32 v17, v17, v19, s4 :: v_dual_cndmask_b32 v16, v16, v18, s4
	v_sub_nc_u32_e32 v29, v28, v27
	v_cndmask_b32_e64 v10, v8, v10, s6
	s_mov_b32 s4, exec_lo
	; wave barrier
	s_delay_alu instid0(VALU_DEP_2)
	v_sub_nc_u32_e32 v4, v13, v29
	v_cmp_ge_i32_e64 s3, v13, v29
	ds_store_2addr_b64 v21, v[6:7], v[10:11] offset1:1
	ds_store_2addr_b64 v21, v[14:15], v[16:17] offset0:2 offset1:3
	; wave barrier
	v_cndmask_b32_e64 v8, 0, v4, s3
	v_lshl_add_u32 v4, v12, 3, v20
	s_delay_alu instid0(VALU_DEP_2)
	v_cmpx_lt_i32_e64 v8, v5
	s_cbranch_execz .LBB14_232
; %bb.225:
	v_dual_lshlrev_b32 v6, 3, v27 :: v_dual_lshlrev_b32 v7, 3, v13
	s_mov_b32 s5, 0
                                        ; implicit-def: $sgpr6
	s_delay_alu instid0(VALU_DEP_1)
	v_add3_u32 v6, v20, v6, v7
	s_branch .LBB14_228
.LBB14_226:                             ;   in Loop: Header=BB14_228 Depth=1
	s_or_b32 exec_lo, exec_lo, s9
	s_delay_alu instid0(SALU_CYCLE_1) | instskip(SKIP_1) | instid1(SALU_CYCLE_1)
	s_and_not1_b32 s3, s6, exec_lo
	s_and_b32 s6, s8, exec_lo
	s_or_b32 s6, s3, s6
.LBB14_227:                             ;   in Loop: Header=BB14_228 Depth=1
	s_or_b32 exec_lo, exec_lo, s7
	v_dual_add_nc_u32 v9, 1, v7 :: v_dual_cndmask_b32 v5, v5, v7, s6
	s_delay_alu instid0(VALU_DEP_1) | instskip(NEXT) | instid1(VALU_DEP_1)
	v_cndmask_b32_e64 v8, v9, v8, s6
	v_cmp_ge_i32_e64 s3, v8, v5
	s_or_b32 s5, s3, s5
	s_delay_alu instid0(SALU_CYCLE_1)
	s_and_not1_b32 exec_lo, exec_lo, s5
	s_cbranch_execz .LBB14_231
.LBB14_228:                             ; =>This Inner Loop Header: Depth=1
	v_sub_nc_u32_e32 v7, v5, v8
	s_or_b32 s6, s6, exec_lo
	s_mov_b32 s7, exec_lo
	s_delay_alu instid0(VALU_DEP_1) | instskip(NEXT) | instid1(VALU_DEP_1)
	v_lshrrev_b32_e32 v7, 1, v7
	v_add_nc_u32_e32 v7, v7, v8
	s_delay_alu instid0(VALU_DEP_1) | instskip(SKIP_1) | instid1(VALU_DEP_2)
	v_not_b32_e32 v10, v7
	v_lshl_add_u32 v9, v7, 3, v4
	v_lshl_add_u32 v10, v10, 3, v6
	ds_load_b32 v11, v9
	ds_load_b32 v14, v10
	s_wait_dscnt 0x0
	v_cmpx_nlt_f32_e32 v14, v11
	s_cbranch_execz .LBB14_227
; %bb.229:                              ;   in Loop: Header=BB14_228 Depth=1
	s_mov_b32 s8, 0
	s_mov_b32 s9, exec_lo
	v_cmpx_eq_f32_e32 v14, v11
	s_cbranch_execz .LBB14_226
; %bb.230:                              ;   in Loop: Header=BB14_228 Depth=1
	ds_load_b32 v10, v10 offset:4
	ds_load_b32 v9, v9 offset:4
	s_wait_dscnt 0x0
	v_cmp_lt_f32_e64 s3, v10, v9
	s_and_b32 s8, s3, exec_lo
	s_branch .LBB14_226
.LBB14_231:
	s_or_b32 exec_lo, exec_lo, s5
.LBB14_232:
	s_delay_alu instid0(SALU_CYCLE_1) | instskip(SKIP_2) | instid1(VALU_DEP_2)
	s_or_b32 exec_lo, exec_lo, s4
	v_add_nc_u32_e32 v5, v13, v27
	v_lshl_add_u32 v10, v8, 3, v4
	v_sub_nc_u32_e32 v21, v5, v8
	s_delay_alu instid0(VALU_DEP_1) | instskip(SKIP_4) | instid1(SALU_CYCLE_1)
	v_lshl_add_u32 v13, v21, 3, v20
	v_cmp_le_i32_e64 s3, v28, v21
	ds_load_b64 v[4:5], v10
	ds_load_b64 v[6:7], v13
	s_and_saveexec_b32 s4, s3
	s_xor_b32 s3, exec_lo, s4
	s_delay_alu instid0(SALU_CYCLE_1)
	s_or_saveexec_b32 s6, s3
	v_add_nc_u32_e32 v29, v8, v12
	s_mov_b32 s5, 0
	s_xor_b32 exec_lo, exec_lo, s6
	s_cbranch_execz .LBB14_238
; %bb.233:
	s_delay_alu instid0(VALU_DEP_1)
	v_cmp_gt_i32_e64 s3, v27, v29
	s_wait_dscnt 0x0
	v_cmp_nlt_f32_e64 s4, v6, v4
	s_and_b32 s5, s3, s4
	s_mov_b32 s3, -1
	s_and_saveexec_b32 s4, s5
	s_cbranch_execz .LBB14_237
; %bb.234:
	s_mov_b32 s5, 0
	s_mov_b32 s7, exec_lo
	v_cmpx_eq_f32_e32 v6, v4
; %bb.235:
	v_cmp_lt_f32_e64 s3, v7, v5
	s_and_b32 s5, s3, exec_lo
; %bb.236:
	s_or_b32 exec_lo, exec_lo, s7
	s_delay_alu instid0(SALU_CYCLE_1)
	s_or_not1_b32 s3, s5, exec_lo
.LBB14_237:
	s_or_b32 exec_lo, exec_lo, s4
	s_delay_alu instid0(SALU_CYCLE_1)
	s_and_b32 s5, s3, exec_lo
.LBB14_238:
	s_or_b32 exec_lo, exec_lo, s6
	s_xor_b32 s3, s5, -1
                                        ; implicit-def: $vgpr8_vgpr9
	s_delay_alu instid0(SALU_CYCLE_1) | instskip(NEXT) | instid1(SALU_CYCLE_1)
	s_and_saveexec_b32 s4, s3
	s_xor_b32 s3, exec_lo, s4
; %bb.239:
	ds_load_b64 v[8:9], v10 offset:8
                                        ; implicit-def: $vgpr13
; %bb.240:
	s_or_saveexec_b32 s3, s3
	s_wait_dscnt 0x0
	v_mov_b64_e32 v[10:11], v[6:7]
	s_xor_b32 exec_lo, exec_lo, s3
; %bb.241:
	ds_load_b64 v[10:11], v13 offset:8
	v_mov_b64_e32 v[8:9], v[4:5]
; %bb.242:
	s_or_b32 exec_lo, exec_lo, s3
	v_add_nc_u32_e32 v12, 1, v21
	s_delay_alu instid0(VALU_DEP_1) | instskip(NEXT) | instid1(VALU_DEP_1)
	v_dual_cndmask_b32 v30, v21, v12, s5 :: v_dual_add_nc_u32 v12, 1, v29
	v_cmp_ge_i32_e64 s3, v30, v28
	s_and_saveexec_b32 s4, s3
	s_delay_alu instid0(SALU_CYCLE_1) | instskip(NEXT) | instid1(SALU_CYCLE_1)
	s_xor_b32 s3, exec_lo, s4
	s_or_saveexec_b32 s7, s3
	v_cndmask_b32_e64 v31, v12, v29, s5
	s_mov_b32 s6, 0
	s_xor_b32 exec_lo, exec_lo, s7
	s_cbranch_execz .LBB14_248
; %bb.243:
	s_delay_alu instid0(VALU_DEP_1)
	v_cmp_lt_i32_e64 s3, v31, v27
	s_wait_dscnt 0x0
	v_cmp_nlt_f32_e64 s4, v10, v8
	s_and_b32 s6, s3, s4
	s_mov_b32 s3, -1
	s_and_saveexec_b32 s4, s6
	s_cbranch_execz .LBB14_247
; %bb.244:
	s_mov_b32 s6, 0
	s_mov_b32 s8, exec_lo
	v_cmpx_eq_f32_e32 v10, v8
; %bb.245:
	v_cmp_lt_f32_e64 s3, v11, v9
	s_and_b32 s6, s3, exec_lo
; %bb.246:
	s_or_b32 exec_lo, exec_lo, s8
	s_delay_alu instid0(SALU_CYCLE_1)
	s_or_not1_b32 s3, s6, exec_lo
.LBB14_247:
	s_or_b32 exec_lo, exec_lo, s4
	s_delay_alu instid0(SALU_CYCLE_1)
	s_and_b32 s6, s3, exec_lo
.LBB14_248:
	s_or_b32 exec_lo, exec_lo, s7
	s_xor_b32 s3, s6, -1
                                        ; implicit-def: $vgpr12_vgpr13
	s_delay_alu instid0(SALU_CYCLE_1) | instskip(NEXT) | instid1(SALU_CYCLE_1)
	s_and_saveexec_b32 s4, s3
	s_xor_b32 s3, exec_lo, s4
; %bb.249:
	v_lshl_add_u32 v12, v31, 3, v20
	ds_load_b64 v[12:13], v12 offset:8
; %bb.250:
	s_or_saveexec_b32 s3, s3
	s_wait_dscnt 0x0
	v_mov_b64_e32 v[14:15], v[10:11]
	s_xor_b32 exec_lo, exec_lo, s3
; %bb.251:
	v_lshl_add_u32 v12, v30, 3, v20
	ds_load_b64 v[14:15], v12 offset:8
	v_mov_b64_e32 v[12:13], v[8:9]
; %bb.252:
	s_or_b32 exec_lo, exec_lo, s3
	v_add_nc_u32_e32 v16, 1, v30
	s_delay_alu instid0(VALU_DEP_1) | instskip(NEXT) | instid1(VALU_DEP_1)
	v_dual_cndmask_b32 v32, v30, v16, s6 :: v_dual_add_nc_u32 v16, 1, v31
	v_cmp_ge_i32_e64 s3, v32, v28
	s_and_saveexec_b32 s4, s3
	s_delay_alu instid0(SALU_CYCLE_1) | instskip(NEXT) | instid1(SALU_CYCLE_1)
	s_xor_b32 s3, exec_lo, s4
	s_or_saveexec_b32 s8, s3
	v_cndmask_b32_e64 v33, v16, v31, s6
	s_mov_b32 s7, 0
	s_xor_b32 exec_lo, exec_lo, s8
	s_cbranch_execz .LBB14_258
; %bb.253:
	s_delay_alu instid0(VALU_DEP_1)
	v_cmp_lt_i32_e64 s3, v33, v27
	s_wait_dscnt 0x0
	v_cmp_nlt_f32_e64 s4, v14, v12
	s_and_b32 s7, s3, s4
	s_mov_b32 s3, -1
	s_and_saveexec_b32 s4, s7
	s_cbranch_execz .LBB14_257
; %bb.254:
	s_mov_b32 s7, 0
	s_mov_b32 s9, exec_lo
	v_cmpx_eq_f32_e32 v14, v12
; %bb.255:
	v_cmp_lt_f32_e64 s3, v15, v13
	s_and_b32 s7, s3, exec_lo
; %bb.256:
	s_or_b32 exec_lo, exec_lo, s9
	s_delay_alu instid0(SALU_CYCLE_1)
	s_or_not1_b32 s3, s7, exec_lo
.LBB14_257:
	s_or_b32 exec_lo, exec_lo, s4
	s_delay_alu instid0(SALU_CYCLE_1)
	s_and_b32 s7, s3, exec_lo
.LBB14_258:
	s_or_b32 exec_lo, exec_lo, s8
	s_xor_b32 s3, s7, -1
                                        ; implicit-def: $vgpr16_vgpr17
	s_delay_alu instid0(SALU_CYCLE_1) | instskip(NEXT) | instid1(SALU_CYCLE_1)
	s_and_saveexec_b32 s4, s3
	s_xor_b32 s3, exec_lo, s4
; %bb.259:
	v_lshl_add_u32 v16, v33, 3, v20
	ds_load_b64 v[16:17], v16 offset:8
; %bb.260:
	s_or_saveexec_b32 s3, s3
	s_wait_dscnt 0x0
	v_mov_b64_e32 v[18:19], v[14:15]
	s_xor_b32 exec_lo, exec_lo, s3
; %bb.261:
	v_lshl_add_u32 v16, v32, 3, v20
	ds_load_b64 v[18:19], v16 offset:8
	v_mov_b64_e32 v[16:17], v[12:13]
; %bb.262:
	s_or_b32 exec_lo, exec_lo, s3
	v_dual_add_nc_u32 v34, 1, v32 :: v_dual_add_nc_u32 v35, 1, v33
	s_mov_b32 s4, 0
	s_mov_b32 s8, exec_lo
	s_delay_alu instid0(VALU_DEP_1) | instskip(NEXT) | instid1(VALU_DEP_1)
	v_dual_cndmask_b32 v34, v32, v34, s7 :: v_dual_cndmask_b32 v35, v35, v33, s7
	v_cmpx_lt_i32_e64 v34, v28
	s_cbranch_execz .LBB14_268
; %bb.263:
	s_delay_alu instid0(VALU_DEP_2)
	v_cmp_lt_i32_e64 s3, v35, v27
	s_wait_dscnt 0x0
	v_cmp_nlt_f32_e64 s4, v18, v16
	s_and_b32 s9, s3, s4
	s_mov_b32 s3, -1
	s_and_saveexec_b32 s4, s9
	s_cbranch_execz .LBB14_267
; %bb.264:
	s_mov_b32 s9, 0
	s_mov_b32 s10, exec_lo
	v_cmpx_eq_f32_e32 v18, v16
; %bb.265:
	v_cmp_lt_f32_e64 s3, v19, v17
	s_and_b32 s9, s3, exec_lo
; %bb.266:
	s_or_b32 exec_lo, exec_lo, s10
	s_delay_alu instid0(SALU_CYCLE_1)
	s_or_not1_b32 s3, s9, exec_lo
.LBB14_267:
	s_or_b32 exec_lo, exec_lo, s4
	s_delay_alu instid0(SALU_CYCLE_1)
	s_and_b32 s4, s3, exec_lo
.LBB14_268:
	s_or_b32 exec_lo, exec_lo, s8
	s_delay_alu instid0(VALU_DEP_2)
	v_dual_cndmask_b32 v21, v29, v21, s5 :: v_dual_cndmask_b32 v29, v35, v34, s4
	v_dual_cndmask_b32 v27, v33, v32, s7 :: v_dual_cndmask_b32 v28, v31, v30, s6
	; wave barrier
	ds_store_2addr_b64 v26, v[0:1], v[2:3] offset1:1
	v_lshl_add_u32 v0, v21, 2, v20
	v_lshl_add_u32 v1, v28, 2, v20
	;; [unrolled: 1-line block ×4, first 2 shown]
	; wave barrier
	ds_load_b32 v3, v0
	ds_load_b32 v2, v1
	;; [unrolled: 1-line block ×4, first 2 shown]
	s_and_saveexec_b32 s3, vcc_lo
	s_cbranch_execnz .LBB14_277
; %bb.269:
	s_or_b32 exec_lo, exec_lo, s3
	s_and_saveexec_b32 s3, s0
	s_cbranch_execnz .LBB14_278
.LBB14_270:
	s_or_b32 exec_lo, exec_lo, s3
	s_and_saveexec_b32 s3, s1
	s_cbranch_execnz .LBB14_279
.LBB14_271:
	s_or_b32 exec_lo, exec_lo, s3
	s_and_saveexec_b32 s3, s2
	s_cbranch_execnz .LBB14_280
.LBB14_272:
	s_or_b32 exec_lo, exec_lo, s3
	s_and_saveexec_b32 s3, vcc_lo
	s_cbranch_execnz .LBB14_281
.LBB14_273:
	s_or_b32 exec_lo, exec_lo, s3
	s_and_saveexec_b32 s3, s0
	s_cbranch_execnz .LBB14_282
.LBB14_274:
	s_or_b32 exec_lo, exec_lo, s3
	s_and_saveexec_b32 s0, s1
	s_cbranch_execnz .LBB14_283
.LBB14_275:
	s_or_b32 exec_lo, exec_lo, s0
	s_and_saveexec_b32 s0, s2
	s_cbranch_execnz .LBB14_284
.LBB14_276:
	s_endpgm
.LBB14_277:
	v_dual_cndmask_b32 v4, v4, v6, s5 :: v_dual_cndmask_b32 v5, v5, v7, s5
	global_store_b64 v[22:23], v[4:5], off
	s_wait_xcnt 0x0
	s_or_b32 exec_lo, exec_lo, s3
	s_and_saveexec_b32 s3, s0
	s_cbranch_execz .LBB14_270
.LBB14_278:
	v_dual_cndmask_b32 v4, v8, v10, s6 :: v_dual_cndmask_b32 v5, v9, v11, s6
	global_store_b64 v[22:23], v[4:5], off offset:8
	s_wait_xcnt 0x0
	s_or_b32 exec_lo, exec_lo, s3
	s_and_saveexec_b32 s3, s1
	s_cbranch_execz .LBB14_271
.LBB14_279:
	v_dual_cndmask_b32 v4, v12, v14, s7 :: v_dual_cndmask_b32 v5, v13, v15, s7
	global_store_b64 v[22:23], v[4:5], off offset:16
	s_wait_xcnt 0x0
	s_or_b32 exec_lo, exec_lo, s3
	s_and_saveexec_b32 s3, s2
	s_cbranch_execz .LBB14_272
.LBB14_280:
	s_wait_dscnt 0x5
	v_dual_cndmask_b32 v5, v17, v19, s4 :: v_dual_cndmask_b32 v4, v16, v18, s4
	global_store_b64 v[22:23], v[4:5], off offset:24
	s_wait_xcnt 0x0
	s_or_b32 exec_lo, exec_lo, s3
	s_and_saveexec_b32 s3, vcc_lo
	s_cbranch_execz .LBB14_273
.LBB14_281:
	s_wait_dscnt 0x3
	global_store_b32 v[24:25], v3, off
	s_wait_xcnt 0x0
	s_or_b32 exec_lo, exec_lo, s3
	s_and_saveexec_b32 s3, s0
	s_cbranch_execz .LBB14_274
.LBB14_282:
	s_wait_dscnt 0x2
	global_store_b32 v[24:25], v2, off offset:4
	s_wait_xcnt 0x0
	s_or_b32 exec_lo, exec_lo, s3
	s_and_saveexec_b32 s0, s1
	s_cbranch_execz .LBB14_275
.LBB14_283:
	s_wait_dscnt 0x1
	global_store_b32 v[24:25], v1, off offset:8
	s_wait_xcnt 0x0
	s_or_b32 exec_lo, exec_lo, s0
	s_and_saveexec_b32 s0, s2
	s_cbranch_execz .LBB14_276
.LBB14_284:
	s_wait_dscnt 0x0
	global_store_b32 v[24:25], v0, off offset:12
	s_endpgm
	.section	.rodata,"a",@progbits
	.p2align	6, 0x0
	.amdhsa_kernel _Z26sort_keys_values_segmentedILj256ELj32ELj4ELb0EN10test_utils16custom_test_typeIfEEiNS0_4lessEEvPT3_PT4_PKjT5_
		.amdhsa_group_segment_fixed_size 8256
		.amdhsa_private_segment_fixed_size 0
		.amdhsa_kernarg_size 28
		.amdhsa_user_sgpr_count 2
		.amdhsa_user_sgpr_dispatch_ptr 0
		.amdhsa_user_sgpr_queue_ptr 0
		.amdhsa_user_sgpr_kernarg_segment_ptr 1
		.amdhsa_user_sgpr_dispatch_id 0
		.amdhsa_user_sgpr_kernarg_preload_length 0
		.amdhsa_user_sgpr_kernarg_preload_offset 0
		.amdhsa_user_sgpr_private_segment_size 0
		.amdhsa_wavefront_size32 1
		.amdhsa_uses_dynamic_stack 0
		.amdhsa_enable_private_segment 0
		.amdhsa_system_sgpr_workgroup_id_x 1
		.amdhsa_system_sgpr_workgroup_id_y 0
		.amdhsa_system_sgpr_workgroup_id_z 0
		.amdhsa_system_sgpr_workgroup_info 0
		.amdhsa_system_vgpr_workitem_id 0
		.amdhsa_next_free_vgpr 44
		.amdhsa_next_free_sgpr 11
		.amdhsa_named_barrier_count 0
		.amdhsa_reserve_vcc 1
		.amdhsa_float_round_mode_32 0
		.amdhsa_float_round_mode_16_64 0
		.amdhsa_float_denorm_mode_32 3
		.amdhsa_float_denorm_mode_16_64 3
		.amdhsa_fp16_overflow 0
		.amdhsa_memory_ordered 1
		.amdhsa_forward_progress 1
		.amdhsa_inst_pref_size 69
		.amdhsa_round_robin_scheduling 0
		.amdhsa_exception_fp_ieee_invalid_op 0
		.amdhsa_exception_fp_denorm_src 0
		.amdhsa_exception_fp_ieee_div_zero 0
		.amdhsa_exception_fp_ieee_overflow 0
		.amdhsa_exception_fp_ieee_underflow 0
		.amdhsa_exception_fp_ieee_inexact 0
		.amdhsa_exception_int_div_zero 0
	.end_amdhsa_kernel
	.section	.text._Z26sort_keys_values_segmentedILj256ELj32ELj4ELb0EN10test_utils16custom_test_typeIfEEiNS0_4lessEEvPT3_PT4_PKjT5_,"axG",@progbits,_Z26sort_keys_values_segmentedILj256ELj32ELj4ELb0EN10test_utils16custom_test_typeIfEEiNS0_4lessEEvPT3_PT4_PKjT5_,comdat
.Lfunc_end14:
	.size	_Z26sort_keys_values_segmentedILj256ELj32ELj4ELb0EN10test_utils16custom_test_typeIfEEiNS0_4lessEEvPT3_PT4_PKjT5_, .Lfunc_end14-_Z26sort_keys_values_segmentedILj256ELj32ELj4ELb0EN10test_utils16custom_test_typeIfEEiNS0_4lessEEvPT3_PT4_PKjT5_
                                        ; -- End function
	.set _Z26sort_keys_values_segmentedILj256ELj32ELj4ELb0EN10test_utils16custom_test_typeIfEEiNS0_4lessEEvPT3_PT4_PKjT5_.num_vgpr, 44
	.set _Z26sort_keys_values_segmentedILj256ELj32ELj4ELb0EN10test_utils16custom_test_typeIfEEiNS0_4lessEEvPT3_PT4_PKjT5_.num_agpr, 0
	.set _Z26sort_keys_values_segmentedILj256ELj32ELj4ELb0EN10test_utils16custom_test_typeIfEEiNS0_4lessEEvPT3_PT4_PKjT5_.numbered_sgpr, 11
	.set _Z26sort_keys_values_segmentedILj256ELj32ELj4ELb0EN10test_utils16custom_test_typeIfEEiNS0_4lessEEvPT3_PT4_PKjT5_.num_named_barrier, 0
	.set _Z26sort_keys_values_segmentedILj256ELj32ELj4ELb0EN10test_utils16custom_test_typeIfEEiNS0_4lessEEvPT3_PT4_PKjT5_.private_seg_size, 0
	.set _Z26sort_keys_values_segmentedILj256ELj32ELj4ELb0EN10test_utils16custom_test_typeIfEEiNS0_4lessEEvPT3_PT4_PKjT5_.uses_vcc, 1
	.set _Z26sort_keys_values_segmentedILj256ELj32ELj4ELb0EN10test_utils16custom_test_typeIfEEiNS0_4lessEEvPT3_PT4_PKjT5_.uses_flat_scratch, 0
	.set _Z26sort_keys_values_segmentedILj256ELj32ELj4ELb0EN10test_utils16custom_test_typeIfEEiNS0_4lessEEvPT3_PT4_PKjT5_.has_dyn_sized_stack, 0
	.set _Z26sort_keys_values_segmentedILj256ELj32ELj4ELb0EN10test_utils16custom_test_typeIfEEiNS0_4lessEEvPT3_PT4_PKjT5_.has_recursion, 0
	.set _Z26sort_keys_values_segmentedILj256ELj32ELj4ELb0EN10test_utils16custom_test_typeIfEEiNS0_4lessEEvPT3_PT4_PKjT5_.has_indirect_call, 0
	.section	.AMDGPU.csdata,"",@progbits
; Kernel info:
; codeLenInByte = 8764
; TotalNumSgprs: 13
; NumVgprs: 44
; ScratchSize: 0
; MemoryBound: 0
; FloatMode: 240
; IeeeMode: 1
; LDSByteSize: 8256 bytes/workgroup (compile time only)
; SGPRBlocks: 0
; VGPRBlocks: 2
; NumSGPRsForWavesPerEU: 13
; NumVGPRsForWavesPerEU: 44
; NamedBarCnt: 0
; Occupancy: 16
; WaveLimiterHint : 0
; COMPUTE_PGM_RSRC2:SCRATCH_EN: 0
; COMPUTE_PGM_RSRC2:USER_SGPR: 2
; COMPUTE_PGM_RSRC2:TRAP_HANDLER: 0
; COMPUTE_PGM_RSRC2:TGID_X_EN: 1
; COMPUTE_PGM_RSRC2:TGID_Y_EN: 0
; COMPUTE_PGM_RSRC2:TGID_Z_EN: 0
; COMPUTE_PGM_RSRC2:TIDIG_COMP_CNT: 0
	.section	.text._Z26sort_keys_values_segmentedILj256ELj32ELj2ELb0EN10test_utils16custom_test_typeIfEEyNS0_4lessEEvPT3_PT4_PKjT5_,"axG",@progbits,_Z26sort_keys_values_segmentedILj256ELj32ELj2ELb0EN10test_utils16custom_test_typeIfEEyNS0_4lessEEvPT3_PT4_PKjT5_,comdat
	.protected	_Z26sort_keys_values_segmentedILj256ELj32ELj2ELb0EN10test_utils16custom_test_typeIfEEyNS0_4lessEEvPT3_PT4_PKjT5_ ; -- Begin function _Z26sort_keys_values_segmentedILj256ELj32ELj2ELb0EN10test_utils16custom_test_typeIfEEyNS0_4lessEEvPT3_PT4_PKjT5_
	.globl	_Z26sort_keys_values_segmentedILj256ELj32ELj2ELb0EN10test_utils16custom_test_typeIfEEyNS0_4lessEEvPT3_PT4_PKjT5_
	.p2align	8
	.type	_Z26sort_keys_values_segmentedILj256ELj32ELj2ELb0EN10test_utils16custom_test_typeIfEEyNS0_4lessEEvPT3_PT4_PKjT5_,@function
_Z26sort_keys_values_segmentedILj256ELj32ELj2ELb0EN10test_utils16custom_test_typeIfEEyNS0_4lessEEvPT3_PT4_PKjT5_: ; @_Z26sort_keys_values_segmentedILj256ELj32ELj2ELb0EN10test_utils16custom_test_typeIfEEyNS0_4lessEEvPT3_PT4_PKjT5_
; %bb.0:
	s_load_b64 s[2:3], s[0:1], 0x10
	s_bfe_u32 s4, ttmp6, 0x4000c
	s_and_b32 s5, ttmp6, 15
	s_add_co_i32 s4, s4, 1
	s_getreg_b32 s6, hwreg(HW_REG_IB_STS2, 6, 4)
	s_mul_i32 s4, ttmp9, s4
	v_dual_mov_b32 v15, 0 :: v_dual_lshrrev_b32 v22, 5, v0
	s_add_co_i32 s5, s5, s4
	s_cmp_eq_u32 s6, 0
	v_mbcnt_lo_u32_b32 v4, -1, 0
	s_cselect_b32 s4, ttmp9, s5
	v_dual_mov_b32 v8, 0 :: v_dual_mov_b32 v9, 0
	v_lshl_or_b32 v0, s4, 3, v22
	s_delay_alu instid0(VALU_DEP_3) | instskip(SKIP_1) | instid1(VALU_DEP_3)
	v_dual_mov_b32 v3, v15 :: v_dual_lshlrev_b32 v14, 4, v4
	v_lshlrev_b32_e32 v19, 1, v4
	v_lshlrev_b32_e32 v2, 6, v0
	s_wait_kmcnt 0x0
	global_load_b32 v18, v0, s[2:3] scale_offset
	s_wait_xcnt 0x0
	s_load_b128 s[0:3], s[0:1], 0x0
	s_wait_kmcnt 0x0
	v_lshl_add_u64 v[0:1], v[2:3], 3, s[0:1]
	s_delay_alu instid0(VALU_DEP_1)
	v_add_nc_u64_e32 v[0:1], v[0:1], v[14:15]
	s_wait_loadcnt 0x0
	v_cmp_lt_u32_e32 vcc_lo, v19, v18
	s_and_saveexec_b32 s0, vcc_lo
	s_cbranch_execz .LBB15_2
; %bb.1:
	global_load_b64 v[8:9], v[0:1], off
.LBB15_2:
	s_wait_xcnt 0x0
	s_or_b32 exec_lo, exec_lo, s0
	v_dual_mov_b32 v13, 0 :: v_dual_bitop2_b32 v14, 1, v19 bitop3:0x54
	s_delay_alu instid0(VALU_DEP_1)
	v_cmp_lt_u32_e64 s0, v14, v18
	s_and_saveexec_b32 s1, s0
	s_cbranch_execz .LBB15_4
; %bb.3:
	global_load_b64 v[12:13], v[0:1], off offset:8
	s_wait_loadcnt 0x0
	v_mov_b32_e32 v15, v12
.LBB15_4:
	s_or_b32 exec_lo, exec_lo, s1
	v_lshl_add_u64 v[2:3], v[2:3], 3, s[2:3]
	v_dual_mov_b32 v11, 0 :: v_dual_lshlrev_b32 v10, 3, v19
	v_mov_b64_e32 v[6:7], 0
	v_mov_b64_e32 v[4:5], 0
	s_delay_alu instid0(VALU_DEP_3)
	v_add_nc_u64_e32 v[2:3], v[2:3], v[10:11]
	s_and_saveexec_b32 s1, vcc_lo
	s_cbranch_execz .LBB15_6
; %bb.5:
	global_load_b64 v[4:5], v[2:3], off
.LBB15_6:
	s_wait_xcnt 0x0
	s_or_b32 exec_lo, exec_lo, s1
	s_and_saveexec_b32 s1, s0
	s_cbranch_execz .LBB15_8
; %bb.7:
	global_load_b64 v[6:7], v[2:3], off offset:8
.LBB15_8:
	s_wait_xcnt 0x0
	s_or_b32 exec_lo, exec_lo, s1
	s_get_pc_i64 s[2:3]
	s_add_nc_u64 s[2:3], s[2:3], _ZN9sort_lastIN10test_utils4lessENS0_16custom_test_typeIfEEE5valueE@rel64+4
	v_cmp_lt_i32_e64 s1, v14, v18
	s_load_b64 s[4:5], s[2:3], 0x0
	s_wait_kmcnt 0x0
	v_cndmask_b32_e64 v13, s5, v13, s1
	v_cndmask_b32_e64 v12, s4, v15, s1
	s_mov_b32 s4, exec_lo
	v_cmpx_lt_i32_e64 v19, v18
	s_cbranch_execz .LBB15_12
; %bb.9:
	s_wait_loadcnt 0x0
	v_cmp_eq_f32_e64 s1, v12, v8
	v_cmp_lt_f32_e64 s2, v13, v9
	v_cmp_lt_f32_e64 s3, v12, v8
	v_mov_b64_e32 v[14:15], v[6:7]
	v_dual_mov_b32 v11, v12 :: v_dual_mov_b32 v16, v9
	s_and_b32 s1, s1, s2
	s_delay_alu instid0(SALU_CYCLE_1) | instskip(NEXT) | instid1(SALU_CYCLE_1)
	s_or_b32 s2, s3, s1
	s_and_saveexec_b32 s1, s2
; %bb.10:
	v_mov_b64_e32 v[14:15], v[4:5]
	v_mov_b64_e32 v[4:5], v[6:7]
	v_dual_mov_b32 v11, v8 :: v_dual_mov_b32 v16, v13
	v_dual_mov_b32 v8, v12 :: v_dual_mov_b32 v13, v9
; %bb.11:
	s_or_b32 exec_lo, exec_lo, s1
	s_delay_alu instid0(VALU_DEP_4) | instskip(NEXT) | instid1(VALU_DEP_3)
	v_mov_b64_e32 v[6:7], v[14:15]
	v_dual_mov_b32 v9, v16 :: v_dual_mov_b32 v12, v11
.LBB15_12:
	s_or_b32 exec_lo, exec_lo, s4
	v_and_b32_e32 v11, 60, v19
	v_mul_u32_u24_e32 v16, 0x208, v22
	s_mov_b32 s3, 0
	s_mov_b32 s2, exec_lo
	s_delay_alu instid0(VALU_DEP_2) | instskip(NEXT) | instid1(VALU_DEP_1)
	v_min_i32_e32 v14, v18, v11
	; wave barrier
	v_add_min_i32_e64 v20, v14, 2, v18
	v_and_b32_e32 v11, 2, v19
	s_delay_alu instid0(VALU_DEP_2) | instskip(NEXT) | instid1(VALU_DEP_1)
	v_add_min_i32_e64 v21, v20, 2, v18
	v_dual_sub_nc_u32 v15, v21, v20 :: v_dual_min_i32 v11, v18, v11
	s_delay_alu instid0(VALU_DEP_1) | instskip(SKIP_1) | instid1(VALU_DEP_1)
	v_sub_nc_u32_e32 v17, v11, v15
	v_cmp_ge_i32_e64 s1, v11, v15
	v_dual_cndmask_b32 v15, 0, v17, s1 :: v_dual_sub_nc_u32 v23, v20, v14
	v_lshlrev_b32_e32 v24, 3, v14
	v_mad_u32_u24 v17, 0x208, v22, v10
	s_delay_alu instid0(VALU_DEP_3) | instskip(NEXT) | instid1(VALU_DEP_3)
	v_min_i32_e32 v23, v11, v23
	v_mad_u32_u24 v10, 0x208, v22, v24
	s_wait_loadcnt 0x0
	ds_store_2addr_b64 v17, v[8:9], v[12:13] offset1:1
	; wave barrier
	v_cmpx_lt_i32_e64 v15, v23
	s_cbranch_execz .LBB15_20
; %bb.13:
	v_dual_lshlrev_b32 v8, 3, v20 :: v_dual_lshlrev_b32 v9, 3, v11
                                        ; implicit-def: $sgpr4
	s_delay_alu instid0(VALU_DEP_1)
	v_add3_u32 v8, v16, v8, v9
	s_branch .LBB15_16
.LBB15_14:                              ;   in Loop: Header=BB15_16 Depth=1
	s_or_b32 exec_lo, exec_lo, s7
	s_delay_alu instid0(SALU_CYCLE_1) | instskip(SKIP_1) | instid1(SALU_CYCLE_1)
	s_and_not1_b32 s1, s4, exec_lo
	s_and_b32 s4, s6, exec_lo
	s_or_b32 s4, s1, s4
.LBB15_15:                              ;   in Loop: Header=BB15_16 Depth=1
	s_or_b32 exec_lo, exec_lo, s5
	v_dual_add_nc_u32 v12, 1, v9 :: v_dual_cndmask_b32 v23, v23, v9, s4
	s_delay_alu instid0(VALU_DEP_1) | instskip(NEXT) | instid1(VALU_DEP_1)
	v_cndmask_b32_e64 v15, v12, v15, s4
	v_cmp_ge_i32_e64 s1, v15, v23
	s_or_b32 s3, s1, s3
	s_delay_alu instid0(SALU_CYCLE_1)
	s_and_not1_b32 exec_lo, exec_lo, s3
	s_cbranch_execz .LBB15_19
.LBB15_16:                              ; =>This Inner Loop Header: Depth=1
	v_sub_nc_u32_e32 v9, v23, v15
	s_or_b32 s4, s4, exec_lo
	s_mov_b32 s5, exec_lo
	s_delay_alu instid0(VALU_DEP_1) | instskip(NEXT) | instid1(VALU_DEP_1)
	v_lshrrev_b32_e32 v9, 1, v9
	v_add_nc_u32_e32 v9, v9, v15
	s_delay_alu instid0(VALU_DEP_1) | instskip(SKIP_1) | instid1(VALU_DEP_2)
	v_not_b32_e32 v13, v9
	v_lshl_add_u32 v12, v9, 3, v10
	v_lshl_add_u32 v13, v13, 3, v8
	ds_load_b32 v22, v12
	ds_load_b32 v24, v13
	s_wait_dscnt 0x0
	v_cmpx_nlt_f32_e32 v24, v22
	s_cbranch_execz .LBB15_15
; %bb.17:                               ;   in Loop: Header=BB15_16 Depth=1
	s_mov_b32 s6, 0
	s_mov_b32 s7, exec_lo
	v_cmpx_eq_f32_e32 v24, v22
	s_cbranch_execz .LBB15_14
; %bb.18:                               ;   in Loop: Header=BB15_16 Depth=1
	ds_load_b32 v13, v13 offset:4
	ds_load_b32 v12, v12 offset:4
	s_wait_dscnt 0x0
	v_cmp_lt_f32_e64 s1, v13, v12
	s_and_b32 s6, s1, exec_lo
	s_branch .LBB15_14
.LBB15_19:
	s_or_b32 exec_lo, exec_lo, s3
.LBB15_20:
	s_delay_alu instid0(SALU_CYCLE_1) | instskip(SKIP_2) | instid1(VALU_DEP_2)
	s_or_b32 exec_lo, exec_lo, s2
	v_add_nc_u32_e32 v8, v20, v11
	v_lshl_add_u32 v25, v15, 3, v10
	v_sub_nc_u32_e32 v22, v8, v15
	s_delay_alu instid0(VALU_DEP_1) | instskip(SKIP_4) | instid1(SALU_CYCLE_1)
	v_lshl_add_u32 v24, v22, 3, v16
	v_cmp_le_i32_e64 s1, v21, v22
	ds_load_b64 v[8:9], v25
	ds_load_b64 v[10:11], v24
	s_and_saveexec_b32 s2, s1
	s_xor_b32 s1, exec_lo, s2
	s_delay_alu instid0(SALU_CYCLE_1)
	s_or_saveexec_b32 s4, s1
	v_add_nc_u32_e32 v23, v15, v14
	s_mov_b32 s3, 0
	s_xor_b32 exec_lo, exec_lo, s4
	s_cbranch_execz .LBB15_26
; %bb.21:
	s_delay_alu instid0(VALU_DEP_1)
	v_cmp_gt_i32_e64 s1, v20, v23
	s_wait_dscnt 0x0
	v_cmp_nlt_f32_e64 s2, v10, v8
	s_and_b32 s3, s1, s2
	s_mov_b32 s1, -1
	s_and_saveexec_b32 s2, s3
	s_cbranch_execz .LBB15_25
; %bb.22:
	s_mov_b32 s3, 0
	s_mov_b32 s5, exec_lo
	v_cmpx_eq_f32_e32 v10, v8
; %bb.23:
	v_cmp_lt_f32_e64 s1, v11, v9
	s_and_b32 s3, s1, exec_lo
; %bb.24:
	s_or_b32 exec_lo, exec_lo, s5
	s_delay_alu instid0(SALU_CYCLE_1)
	s_or_not1_b32 s1, s3, exec_lo
.LBB15_25:
	s_or_b32 exec_lo, exec_lo, s2
	s_delay_alu instid0(SALU_CYCLE_1)
	s_and_b32 s3, s1, exec_lo
.LBB15_26:
	s_or_b32 exec_lo, exec_lo, s4
	s_xor_b32 s1, s3, -1
                                        ; implicit-def: $vgpr12_vgpr13
	s_delay_alu instid0(SALU_CYCLE_1) | instskip(NEXT) | instid1(SALU_CYCLE_1)
	s_and_saveexec_b32 s2, s1
	s_xor_b32 s1, exec_lo, s2
; %bb.27:
	ds_load_b64 v[12:13], v25 offset:8
                                        ; implicit-def: $vgpr24
; %bb.28:
	s_or_saveexec_b32 s1, s1
	s_wait_dscnt 0x0
	v_mov_b64_e32 v[14:15], v[10:11]
	s_xor_b32 exec_lo, exec_lo, s1
; %bb.29:
	ds_load_b64 v[14:15], v24 offset:8
	v_mov_b64_e32 v[12:13], v[8:9]
; %bb.30:
	s_or_b32 exec_lo, exec_lo, s1
	v_dual_add_nc_u32 v24, 1, v22 :: v_dual_add_nc_u32 v26, 1, v23
	s_mov_b32 s2, 0
	s_mov_b32 s4, exec_lo
	s_delay_alu instid0(VALU_DEP_1) | instskip(NEXT) | instid1(VALU_DEP_2)
	v_cndmask_b32_e64 v25, v22, v24, s3
	v_cndmask_b32_e64 v26, v26, v23, s3
	s_delay_alu instid0(VALU_DEP_2)
	v_cmpx_lt_i32_e64 v25, v21
	s_cbranch_execz .LBB15_36
; %bb.31:
	s_delay_alu instid0(VALU_DEP_2)
	v_cmp_lt_i32_e64 s1, v26, v20
	s_wait_dscnt 0x0
	v_cmp_nlt_f32_e64 s2, v14, v12
	s_and_b32 s5, s1, s2
	s_mov_b32 s1, -1
	s_and_saveexec_b32 s2, s5
	s_cbranch_execz .LBB15_35
; %bb.32:
	s_mov_b32 s5, 0
	s_mov_b32 s6, exec_lo
	v_cmpx_eq_f32_e32 v14, v12
; %bb.33:
	v_cmp_lt_f32_e64 s1, v15, v13
	s_and_b32 s5, s1, exec_lo
; %bb.34:
	s_or_b32 exec_lo, exec_lo, s6
	s_delay_alu instid0(SALU_CYCLE_1)
	s_or_not1_b32 s1, s5, exec_lo
.LBB15_35:
	s_or_b32 exec_lo, exec_lo, s2
	s_delay_alu instid0(SALU_CYCLE_1)
	s_and_b32 s2, s1, exec_lo
.LBB15_36:
	s_or_b32 exec_lo, exec_lo, s4
	v_dual_cndmask_b32 v22, v23, v22, s3 :: v_dual_bitop2_b32 v20, 56, v19 bitop3:0x40
	v_cndmask_b32_e64 v23, v26, v25, s2
	; wave barrier
	s_delay_alu instid0(VALU_DEP_2)
	v_min_i32_e32 v24, v18, v20
	ds_store_2addr_b64 v17, v[4:5], v[6:7] offset1:1
	v_and_b32_e32 v4, 6, v19
	v_lshl_add_u32 v5, v22, 3, v16
	v_lshl_add_u32 v6, v23, 3, v16
	v_add_min_i32_e64 v20, v24, 4, v18
	; wave barrier
	s_delay_alu instid0(VALU_DEP_4) | instskip(NEXT) | instid1(VALU_DEP_2)
	v_dual_cndmask_b32 v10, v8, v10, s3 :: v_dual_min_i32 v22, v18, v4
	v_add_min_i32_e64 v21, v20, 4, v18
	ds_load_b64 v[4:5], v5
	ds_load_b64 v[6:7], v6
	s_wait_dscnt 0x3
	v_cndmask_b32_e64 v12, v12, v14, s2
	; wave barrier
	v_sub_nc_u32_e32 v23, v21, v20
	v_lshl_add_u32 v8, v24, 3, v16
	v_dual_sub_nc_u32 v26, v20, v24 :: v_dual_cndmask_b32 v13, v13, v15, s2
	s_mov_b32 s2, exec_lo
	s_delay_alu instid0(VALU_DEP_3) | instskip(SKIP_1) | instid1(VALU_DEP_3)
	v_sub_nc_u32_e32 v25, v22, v23
	v_cmp_ge_i32_e64 s1, v22, v23
	v_dual_cndmask_b32 v11, v9, v11, s3 :: v_dual_min_i32 v9, v22, v26
	s_delay_alu instid0(VALU_DEP_2)
	v_cndmask_b32_e64 v23, 0, v25, s1
	ds_store_2addr_b64 v17, v[10:11], v[12:13] offset1:1
	; wave barrier
	v_cmpx_lt_i32_e64 v23, v9
	s_cbranch_execz .LBB15_44
; %bb.37:
	v_dual_lshlrev_b32 v10, 3, v20 :: v_dual_lshlrev_b32 v11, 3, v22
	s_mov_b32 s3, 0
                                        ; implicit-def: $sgpr4
	s_delay_alu instid0(VALU_DEP_1)
	v_add3_u32 v10, v16, v10, v11
	s_branch .LBB15_40
.LBB15_38:                              ;   in Loop: Header=BB15_40 Depth=1
	s_or_b32 exec_lo, exec_lo, s7
	s_delay_alu instid0(SALU_CYCLE_1) | instskip(SKIP_1) | instid1(SALU_CYCLE_1)
	s_and_not1_b32 s1, s4, exec_lo
	s_and_b32 s4, s6, exec_lo
	s_or_b32 s4, s1, s4
.LBB15_39:                              ;   in Loop: Header=BB15_40 Depth=1
	s_or_b32 exec_lo, exec_lo, s5
	v_dual_add_nc_u32 v12, 1, v11 :: v_dual_cndmask_b32 v9, v9, v11, s4
	s_delay_alu instid0(VALU_DEP_1) | instskip(NEXT) | instid1(VALU_DEP_1)
	v_cndmask_b32_e64 v23, v12, v23, s4
	v_cmp_ge_i32_e64 s1, v23, v9
	s_or_b32 s3, s1, s3
	s_delay_alu instid0(SALU_CYCLE_1)
	s_and_not1_b32 exec_lo, exec_lo, s3
	s_cbranch_execz .LBB15_43
.LBB15_40:                              ; =>This Inner Loop Header: Depth=1
	v_sub_nc_u32_e32 v11, v9, v23
	s_or_b32 s4, s4, exec_lo
	s_mov_b32 s5, exec_lo
	s_delay_alu instid0(VALU_DEP_1) | instskip(NEXT) | instid1(VALU_DEP_1)
	v_lshrrev_b32_e32 v11, 1, v11
	v_add_nc_u32_e32 v11, v11, v23
	s_delay_alu instid0(VALU_DEP_1) | instskip(SKIP_1) | instid1(VALU_DEP_2)
	v_not_b32_e32 v13, v11
	v_lshl_add_u32 v12, v11, 3, v8
	v_lshl_add_u32 v13, v13, 3, v10
	ds_load_b32 v14, v12
	ds_load_b32 v15, v13
	s_wait_dscnt 0x0
	v_cmpx_nlt_f32_e32 v15, v14
	s_cbranch_execz .LBB15_39
; %bb.41:                               ;   in Loop: Header=BB15_40 Depth=1
	s_mov_b32 s6, 0
	s_mov_b32 s7, exec_lo
	v_cmpx_eq_f32_e32 v15, v14
	s_cbranch_execz .LBB15_38
; %bb.42:                               ;   in Loop: Header=BB15_40 Depth=1
	ds_load_b32 v13, v13 offset:4
	ds_load_b32 v12, v12 offset:4
	s_wait_dscnt 0x0
	v_cmp_lt_f32_e64 s1, v13, v12
	s_and_b32 s6, s1, exec_lo
	s_branch .LBB15_38
.LBB15_43:
	s_or_b32 exec_lo, exec_lo, s3
.LBB15_44:
	s_delay_alu instid0(SALU_CYCLE_1) | instskip(SKIP_2) | instid1(VALU_DEP_2)
	s_or_b32 exec_lo, exec_lo, s2
	v_add_nc_u32_e32 v9, v20, v22
	v_lshl_add_u32 v14, v23, 3, v8
	v_sub_nc_u32_e32 v22, v9, v23
	s_delay_alu instid0(VALU_DEP_1) | instskip(SKIP_4) | instid1(SALU_CYCLE_1)
	v_lshl_add_u32 v25, v22, 3, v16
	v_cmp_le_i32_e64 s1, v21, v22
	ds_load_b64 v[8:9], v14
	ds_load_b64 v[10:11], v25
	s_and_saveexec_b32 s2, s1
	s_xor_b32 s1, exec_lo, s2
	s_delay_alu instid0(SALU_CYCLE_1)
	s_or_saveexec_b32 s4, s1
	v_add_nc_u32_e32 v23, v23, v24
	s_mov_b32 s3, 0
	s_xor_b32 exec_lo, exec_lo, s4
	s_cbranch_execz .LBB15_50
; %bb.45:
	s_delay_alu instid0(VALU_DEP_1)
	v_cmp_gt_i32_e64 s1, v20, v23
	s_wait_dscnt 0x0
	v_cmp_nlt_f32_e64 s2, v10, v8
	s_and_b32 s3, s1, s2
	s_mov_b32 s1, -1
	s_and_saveexec_b32 s2, s3
	s_cbranch_execz .LBB15_49
; %bb.46:
	s_mov_b32 s3, 0
	s_mov_b32 s5, exec_lo
	v_cmpx_eq_f32_e32 v10, v8
; %bb.47:
	v_cmp_lt_f32_e64 s1, v11, v9
	s_and_b32 s3, s1, exec_lo
; %bb.48:
	s_or_b32 exec_lo, exec_lo, s5
	s_delay_alu instid0(SALU_CYCLE_1)
	s_or_not1_b32 s1, s3, exec_lo
.LBB15_49:
	s_or_b32 exec_lo, exec_lo, s2
	s_delay_alu instid0(SALU_CYCLE_1)
	s_and_b32 s3, s1, exec_lo
.LBB15_50:
	s_or_b32 exec_lo, exec_lo, s4
	s_xor_b32 s1, s3, -1
                                        ; implicit-def: $vgpr12_vgpr13
	s_delay_alu instid0(SALU_CYCLE_1) | instskip(NEXT) | instid1(SALU_CYCLE_1)
	s_and_saveexec_b32 s2, s1
	s_xor_b32 s1, exec_lo, s2
; %bb.51:
	ds_load_b64 v[12:13], v14 offset:8
                                        ; implicit-def: $vgpr25
; %bb.52:
	s_or_saveexec_b32 s1, s1
	s_wait_dscnt 0x0
	v_mov_b64_e32 v[14:15], v[10:11]
	s_xor_b32 exec_lo, exec_lo, s1
; %bb.53:
	ds_load_b64 v[14:15], v25 offset:8
	v_mov_b64_e32 v[12:13], v[8:9]
; %bb.54:
	s_or_b32 exec_lo, exec_lo, s1
	v_dual_add_nc_u32 v24, 1, v22 :: v_dual_add_nc_u32 v26, 1, v23
	s_mov_b32 s2, 0
	s_mov_b32 s4, exec_lo
	s_delay_alu instid0(VALU_DEP_1) | instskip(NEXT) | instid1(VALU_DEP_2)
	v_cndmask_b32_e64 v25, v22, v24, s3
	v_cndmask_b32_e64 v26, v26, v23, s3
	s_delay_alu instid0(VALU_DEP_2)
	v_cmpx_lt_i32_e64 v25, v21
	s_cbranch_execz .LBB15_60
; %bb.55:
	s_delay_alu instid0(VALU_DEP_2)
	v_cmp_lt_i32_e64 s1, v26, v20
	s_wait_dscnt 0x0
	v_cmp_nlt_f32_e64 s2, v14, v12
	s_and_b32 s5, s1, s2
	s_mov_b32 s1, -1
	s_and_saveexec_b32 s2, s5
	s_cbranch_execz .LBB15_59
; %bb.56:
	s_mov_b32 s5, 0
	s_mov_b32 s6, exec_lo
	v_cmpx_eq_f32_e32 v14, v12
; %bb.57:
	v_cmp_lt_f32_e64 s1, v15, v13
	s_and_b32 s5, s1, exec_lo
; %bb.58:
	s_or_b32 exec_lo, exec_lo, s6
	s_delay_alu instid0(SALU_CYCLE_1)
	s_or_not1_b32 s1, s5, exec_lo
.LBB15_59:
	s_or_b32 exec_lo, exec_lo, s2
	s_delay_alu instid0(SALU_CYCLE_1)
	s_and_b32 s2, s1, exec_lo
.LBB15_60:
	s_or_b32 exec_lo, exec_lo, s4
	v_dual_cndmask_b32 v22, v23, v22, s3 :: v_dual_bitop2_b32 v20, 48, v19 bitop3:0x40
	v_cndmask_b32_e64 v23, v26, v25, s2
	; wave barrier
	s_delay_alu instid0(VALU_DEP_2)
	v_min_i32_e32 v24, v18, v20
	ds_store_2addr_b64 v17, v[4:5], v[6:7] offset1:1
	v_and_b32_e32 v4, 14, v19
	v_lshl_add_u32 v5, v22, 3, v16
	v_lshl_add_u32 v6, v23, 3, v16
	v_add_min_i32_e64 v20, v24, 8, v18
	; wave barrier
	s_delay_alu instid0(VALU_DEP_4) | instskip(NEXT) | instid1(VALU_DEP_2)
	v_dual_cndmask_b32 v10, v8, v10, s3 :: v_dual_min_i32 v22, v18, v4
	v_add_min_i32_e64 v21, v20, 8, v18
	ds_load_b64 v[4:5], v5
	ds_load_b64 v[6:7], v6
	s_wait_dscnt 0x3
	v_cndmask_b32_e64 v12, v12, v14, s2
	; wave barrier
	v_sub_nc_u32_e32 v23, v21, v20
	v_lshl_add_u32 v8, v24, 3, v16
	v_dual_sub_nc_u32 v26, v20, v24 :: v_dual_cndmask_b32 v13, v13, v15, s2
	s_mov_b32 s2, exec_lo
	s_delay_alu instid0(VALU_DEP_3) | instskip(SKIP_1) | instid1(VALU_DEP_3)
	v_sub_nc_u32_e32 v25, v22, v23
	v_cmp_ge_i32_e64 s1, v22, v23
	v_dual_cndmask_b32 v11, v9, v11, s3 :: v_dual_min_i32 v9, v22, v26
	s_delay_alu instid0(VALU_DEP_2)
	v_cndmask_b32_e64 v23, 0, v25, s1
	ds_store_2addr_b64 v17, v[10:11], v[12:13] offset1:1
	; wave barrier
	v_cmpx_lt_i32_e64 v23, v9
	s_cbranch_execz .LBB15_68
; %bb.61:
	v_dual_lshlrev_b32 v10, 3, v20 :: v_dual_lshlrev_b32 v11, 3, v22
	s_mov_b32 s3, 0
                                        ; implicit-def: $sgpr4
	s_delay_alu instid0(VALU_DEP_1)
	v_add3_u32 v10, v16, v10, v11
	s_branch .LBB15_64
.LBB15_62:                              ;   in Loop: Header=BB15_64 Depth=1
	s_or_b32 exec_lo, exec_lo, s7
	s_delay_alu instid0(SALU_CYCLE_1) | instskip(SKIP_1) | instid1(SALU_CYCLE_1)
	s_and_not1_b32 s1, s4, exec_lo
	s_and_b32 s4, s6, exec_lo
	s_or_b32 s4, s1, s4
.LBB15_63:                              ;   in Loop: Header=BB15_64 Depth=1
	s_or_b32 exec_lo, exec_lo, s5
	v_dual_add_nc_u32 v12, 1, v11 :: v_dual_cndmask_b32 v9, v9, v11, s4
	s_delay_alu instid0(VALU_DEP_1) | instskip(NEXT) | instid1(VALU_DEP_1)
	v_cndmask_b32_e64 v23, v12, v23, s4
	v_cmp_ge_i32_e64 s1, v23, v9
	s_or_b32 s3, s1, s3
	s_delay_alu instid0(SALU_CYCLE_1)
	s_and_not1_b32 exec_lo, exec_lo, s3
	s_cbranch_execz .LBB15_67
.LBB15_64:                              ; =>This Inner Loop Header: Depth=1
	v_sub_nc_u32_e32 v11, v9, v23
	s_or_b32 s4, s4, exec_lo
	s_mov_b32 s5, exec_lo
	s_delay_alu instid0(VALU_DEP_1) | instskip(NEXT) | instid1(VALU_DEP_1)
	v_lshrrev_b32_e32 v11, 1, v11
	v_add_nc_u32_e32 v11, v11, v23
	s_delay_alu instid0(VALU_DEP_1) | instskip(SKIP_1) | instid1(VALU_DEP_2)
	v_not_b32_e32 v13, v11
	v_lshl_add_u32 v12, v11, 3, v8
	v_lshl_add_u32 v13, v13, 3, v10
	ds_load_b32 v14, v12
	ds_load_b32 v15, v13
	s_wait_dscnt 0x0
	v_cmpx_nlt_f32_e32 v15, v14
	s_cbranch_execz .LBB15_63
; %bb.65:                               ;   in Loop: Header=BB15_64 Depth=1
	s_mov_b32 s6, 0
	s_mov_b32 s7, exec_lo
	v_cmpx_eq_f32_e32 v15, v14
	s_cbranch_execz .LBB15_62
; %bb.66:                               ;   in Loop: Header=BB15_64 Depth=1
	ds_load_b32 v13, v13 offset:4
	ds_load_b32 v12, v12 offset:4
	s_wait_dscnt 0x0
	v_cmp_lt_f32_e64 s1, v13, v12
	s_and_b32 s6, s1, exec_lo
	s_branch .LBB15_62
.LBB15_67:
	s_or_b32 exec_lo, exec_lo, s3
.LBB15_68:
	s_delay_alu instid0(SALU_CYCLE_1) | instskip(SKIP_2) | instid1(VALU_DEP_2)
	s_or_b32 exec_lo, exec_lo, s2
	v_add_nc_u32_e32 v9, v20, v22
	v_lshl_add_u32 v14, v23, 3, v8
	v_sub_nc_u32_e32 v22, v9, v23
	s_delay_alu instid0(VALU_DEP_1) | instskip(SKIP_4) | instid1(SALU_CYCLE_1)
	v_lshl_add_u32 v25, v22, 3, v16
	v_cmp_le_i32_e64 s1, v21, v22
	ds_load_b64 v[8:9], v14
	ds_load_b64 v[10:11], v25
	s_and_saveexec_b32 s2, s1
	s_xor_b32 s1, exec_lo, s2
	s_delay_alu instid0(SALU_CYCLE_1)
	s_or_saveexec_b32 s4, s1
	v_add_nc_u32_e32 v23, v23, v24
	s_mov_b32 s3, 0
	s_xor_b32 exec_lo, exec_lo, s4
	s_cbranch_execz .LBB15_74
; %bb.69:
	s_delay_alu instid0(VALU_DEP_1)
	v_cmp_gt_i32_e64 s1, v20, v23
	s_wait_dscnt 0x0
	v_cmp_nlt_f32_e64 s2, v10, v8
	s_and_b32 s3, s1, s2
	s_mov_b32 s1, -1
	s_and_saveexec_b32 s2, s3
	s_cbranch_execz .LBB15_73
; %bb.70:
	s_mov_b32 s3, 0
	s_mov_b32 s5, exec_lo
	v_cmpx_eq_f32_e32 v10, v8
; %bb.71:
	v_cmp_lt_f32_e64 s1, v11, v9
	s_and_b32 s3, s1, exec_lo
; %bb.72:
	s_or_b32 exec_lo, exec_lo, s5
	s_delay_alu instid0(SALU_CYCLE_1)
	s_or_not1_b32 s1, s3, exec_lo
.LBB15_73:
	s_or_b32 exec_lo, exec_lo, s2
	s_delay_alu instid0(SALU_CYCLE_1)
	s_and_b32 s3, s1, exec_lo
.LBB15_74:
	s_or_b32 exec_lo, exec_lo, s4
	s_xor_b32 s1, s3, -1
                                        ; implicit-def: $vgpr12_vgpr13
	s_delay_alu instid0(SALU_CYCLE_1) | instskip(NEXT) | instid1(SALU_CYCLE_1)
	s_and_saveexec_b32 s2, s1
	s_xor_b32 s1, exec_lo, s2
; %bb.75:
	ds_load_b64 v[12:13], v14 offset:8
                                        ; implicit-def: $vgpr25
; %bb.76:
	s_or_saveexec_b32 s1, s1
	s_wait_dscnt 0x0
	v_mov_b64_e32 v[14:15], v[10:11]
	s_xor_b32 exec_lo, exec_lo, s1
; %bb.77:
	ds_load_b64 v[14:15], v25 offset:8
	v_mov_b64_e32 v[12:13], v[8:9]
; %bb.78:
	s_or_b32 exec_lo, exec_lo, s1
	v_dual_add_nc_u32 v24, 1, v22 :: v_dual_add_nc_u32 v26, 1, v23
	s_mov_b32 s2, 0
	s_mov_b32 s4, exec_lo
	s_delay_alu instid0(VALU_DEP_1) | instskip(NEXT) | instid1(VALU_DEP_2)
	v_cndmask_b32_e64 v25, v22, v24, s3
	v_cndmask_b32_e64 v26, v26, v23, s3
	s_delay_alu instid0(VALU_DEP_2)
	v_cmpx_lt_i32_e64 v25, v21
	s_cbranch_execz .LBB15_84
; %bb.79:
	s_delay_alu instid0(VALU_DEP_2)
	v_cmp_lt_i32_e64 s1, v26, v20
	s_wait_dscnt 0x0
	v_cmp_nlt_f32_e64 s2, v14, v12
	s_and_b32 s5, s1, s2
	s_mov_b32 s1, -1
	s_and_saveexec_b32 s2, s5
	s_cbranch_execz .LBB15_83
; %bb.80:
	s_mov_b32 s5, 0
	s_mov_b32 s6, exec_lo
	v_cmpx_eq_f32_e32 v14, v12
; %bb.81:
	v_cmp_lt_f32_e64 s1, v15, v13
	s_and_b32 s5, s1, exec_lo
; %bb.82:
	s_or_b32 exec_lo, exec_lo, s6
	s_delay_alu instid0(SALU_CYCLE_1)
	s_or_not1_b32 s1, s5, exec_lo
.LBB15_83:
	s_or_b32 exec_lo, exec_lo, s2
	s_delay_alu instid0(SALU_CYCLE_1)
	s_and_b32 s2, s1, exec_lo
.LBB15_84:
	s_or_b32 exec_lo, exec_lo, s4
	v_dual_cndmask_b32 v22, v23, v22, s3 :: v_dual_bitop2_b32 v20, 32, v19 bitop3:0x40
	v_cndmask_b32_e64 v23, v26, v25, s2
	; wave barrier
	s_delay_alu instid0(VALU_DEP_2)
	v_min_i32_e32 v24, v18, v20
	ds_store_2addr_b64 v17, v[4:5], v[6:7] offset1:1
	v_and_b32_e32 v4, 30, v19
	v_lshl_add_u32 v5, v22, 3, v16
	v_lshl_add_u32 v6, v23, 3, v16
	v_add_min_i32_e64 v20, v24, 16, v18
	; wave barrier
	s_delay_alu instid0(VALU_DEP_4) | instskip(NEXT) | instid1(VALU_DEP_2)
	v_dual_cndmask_b32 v10, v8, v10, s3 :: v_dual_min_i32 v22, v18, v4
	v_add_min_i32_e64 v21, v20, 16, v18
	ds_load_b64 v[4:5], v5
	ds_load_b64 v[6:7], v6
	s_wait_dscnt 0x3
	v_cndmask_b32_e64 v12, v12, v14, s2
	; wave barrier
	v_sub_nc_u32_e32 v23, v21, v20
	v_lshl_add_u32 v8, v24, 3, v16
	v_dual_sub_nc_u32 v26, v20, v24 :: v_dual_cndmask_b32 v13, v13, v15, s2
	s_mov_b32 s2, exec_lo
	s_delay_alu instid0(VALU_DEP_3) | instskip(SKIP_1) | instid1(VALU_DEP_3)
	v_sub_nc_u32_e32 v25, v22, v23
	v_cmp_ge_i32_e64 s1, v22, v23
	v_dual_cndmask_b32 v11, v9, v11, s3 :: v_dual_min_i32 v9, v22, v26
	s_delay_alu instid0(VALU_DEP_2)
	v_cndmask_b32_e64 v23, 0, v25, s1
	ds_store_2addr_b64 v17, v[10:11], v[12:13] offset1:1
	; wave barrier
	v_cmpx_lt_i32_e64 v23, v9
	s_cbranch_execz .LBB15_92
; %bb.85:
	v_dual_lshlrev_b32 v10, 3, v20 :: v_dual_lshlrev_b32 v11, 3, v22
	s_mov_b32 s3, 0
                                        ; implicit-def: $sgpr4
	s_delay_alu instid0(VALU_DEP_1)
	v_add3_u32 v10, v16, v10, v11
	s_branch .LBB15_88
.LBB15_86:                              ;   in Loop: Header=BB15_88 Depth=1
	s_or_b32 exec_lo, exec_lo, s7
	s_delay_alu instid0(SALU_CYCLE_1) | instskip(SKIP_1) | instid1(SALU_CYCLE_1)
	s_and_not1_b32 s1, s4, exec_lo
	s_and_b32 s4, s6, exec_lo
	s_or_b32 s4, s1, s4
.LBB15_87:                              ;   in Loop: Header=BB15_88 Depth=1
	s_or_b32 exec_lo, exec_lo, s5
	v_dual_add_nc_u32 v12, 1, v11 :: v_dual_cndmask_b32 v9, v9, v11, s4
	s_delay_alu instid0(VALU_DEP_1) | instskip(NEXT) | instid1(VALU_DEP_1)
	v_cndmask_b32_e64 v23, v12, v23, s4
	v_cmp_ge_i32_e64 s1, v23, v9
	s_or_b32 s3, s1, s3
	s_delay_alu instid0(SALU_CYCLE_1)
	s_and_not1_b32 exec_lo, exec_lo, s3
	s_cbranch_execz .LBB15_91
.LBB15_88:                              ; =>This Inner Loop Header: Depth=1
	v_sub_nc_u32_e32 v11, v9, v23
	s_or_b32 s4, s4, exec_lo
	s_mov_b32 s5, exec_lo
	s_delay_alu instid0(VALU_DEP_1) | instskip(NEXT) | instid1(VALU_DEP_1)
	v_lshrrev_b32_e32 v11, 1, v11
	v_add_nc_u32_e32 v11, v11, v23
	s_delay_alu instid0(VALU_DEP_1) | instskip(SKIP_1) | instid1(VALU_DEP_2)
	v_not_b32_e32 v13, v11
	v_lshl_add_u32 v12, v11, 3, v8
	v_lshl_add_u32 v13, v13, 3, v10
	ds_load_b32 v14, v12
	ds_load_b32 v15, v13
	s_wait_dscnt 0x0
	v_cmpx_nlt_f32_e32 v15, v14
	s_cbranch_execz .LBB15_87
; %bb.89:                               ;   in Loop: Header=BB15_88 Depth=1
	s_mov_b32 s6, 0
	s_mov_b32 s7, exec_lo
	v_cmpx_eq_f32_e32 v15, v14
	s_cbranch_execz .LBB15_86
; %bb.90:                               ;   in Loop: Header=BB15_88 Depth=1
	ds_load_b32 v13, v13 offset:4
	ds_load_b32 v12, v12 offset:4
	s_wait_dscnt 0x0
	v_cmp_lt_f32_e64 s1, v13, v12
	s_and_b32 s6, s1, exec_lo
	s_branch .LBB15_86
.LBB15_91:
	s_or_b32 exec_lo, exec_lo, s3
.LBB15_92:
	s_delay_alu instid0(SALU_CYCLE_1) | instskip(SKIP_2) | instid1(VALU_DEP_2)
	s_or_b32 exec_lo, exec_lo, s2
	v_add_nc_u32_e32 v9, v20, v22
	v_lshl_add_u32 v14, v23, 3, v8
	v_sub_nc_u32_e32 v22, v9, v23
	s_delay_alu instid0(VALU_DEP_1) | instskip(SKIP_4) | instid1(SALU_CYCLE_1)
	v_lshl_add_u32 v25, v22, 3, v16
	v_cmp_le_i32_e64 s1, v21, v22
	ds_load_b64 v[8:9], v14
	ds_load_b64 v[10:11], v25
	s_and_saveexec_b32 s2, s1
	s_xor_b32 s1, exec_lo, s2
	s_delay_alu instid0(SALU_CYCLE_1)
	s_or_saveexec_b32 s4, s1
	v_add_nc_u32_e32 v23, v23, v24
	s_mov_b32 s3, 0
	s_xor_b32 exec_lo, exec_lo, s4
	s_cbranch_execz .LBB15_98
; %bb.93:
	s_delay_alu instid0(VALU_DEP_1)
	v_cmp_gt_i32_e64 s1, v20, v23
	s_wait_dscnt 0x0
	v_cmp_nlt_f32_e64 s2, v10, v8
	s_and_b32 s3, s1, s2
	s_mov_b32 s1, -1
	s_and_saveexec_b32 s2, s3
	s_cbranch_execz .LBB15_97
; %bb.94:
	s_mov_b32 s3, 0
	s_mov_b32 s5, exec_lo
	v_cmpx_eq_f32_e32 v10, v8
; %bb.95:
	v_cmp_lt_f32_e64 s1, v11, v9
	s_and_b32 s3, s1, exec_lo
; %bb.96:
	s_or_b32 exec_lo, exec_lo, s5
	s_delay_alu instid0(SALU_CYCLE_1)
	s_or_not1_b32 s1, s3, exec_lo
.LBB15_97:
	s_or_b32 exec_lo, exec_lo, s2
	s_delay_alu instid0(SALU_CYCLE_1)
	s_and_b32 s3, s1, exec_lo
.LBB15_98:
	s_or_b32 exec_lo, exec_lo, s4
	s_xor_b32 s1, s3, -1
                                        ; implicit-def: $vgpr12_vgpr13
	s_delay_alu instid0(SALU_CYCLE_1) | instskip(NEXT) | instid1(SALU_CYCLE_1)
	s_and_saveexec_b32 s2, s1
	s_xor_b32 s1, exec_lo, s2
; %bb.99:
	ds_load_b64 v[12:13], v14 offset:8
                                        ; implicit-def: $vgpr25
; %bb.100:
	s_or_saveexec_b32 s1, s1
	s_wait_dscnt 0x0
	v_mov_b64_e32 v[14:15], v[10:11]
	s_xor_b32 exec_lo, exec_lo, s1
; %bb.101:
	ds_load_b64 v[14:15], v25 offset:8
	v_mov_b64_e32 v[12:13], v[8:9]
; %bb.102:
	s_or_b32 exec_lo, exec_lo, s1
	v_dual_add_nc_u32 v24, 1, v22 :: v_dual_add_nc_u32 v26, 1, v23
	s_mov_b32 s2, 0
	s_mov_b32 s4, exec_lo
	s_delay_alu instid0(VALU_DEP_1) | instskip(NEXT) | instid1(VALU_DEP_2)
	v_cndmask_b32_e64 v25, v22, v24, s3
	v_cndmask_b32_e64 v26, v26, v23, s3
	s_delay_alu instid0(VALU_DEP_2)
	v_cmpx_lt_i32_e64 v25, v21
	s_cbranch_execz .LBB15_108
; %bb.103:
	s_delay_alu instid0(VALU_DEP_2)
	v_cmp_lt_i32_e64 s1, v26, v20
	s_wait_dscnt 0x0
	v_cmp_nlt_f32_e64 s2, v14, v12
	s_and_b32 s5, s1, s2
	s_mov_b32 s1, -1
	s_and_saveexec_b32 s2, s5
	s_cbranch_execz .LBB15_107
; %bb.104:
	s_mov_b32 s5, 0
	s_mov_b32 s6, exec_lo
	v_cmpx_eq_f32_e32 v14, v12
; %bb.105:
	v_cmp_lt_f32_e64 s1, v15, v13
	s_and_b32 s5, s1, exec_lo
; %bb.106:
	s_or_b32 exec_lo, exec_lo, s6
	s_delay_alu instid0(SALU_CYCLE_1)
	s_or_not1_b32 s1, s5, exec_lo
.LBB15_107:
	s_or_b32 exec_lo, exec_lo, s2
	s_delay_alu instid0(SALU_CYCLE_1)
	s_and_b32 s2, s1, exec_lo
.LBB15_108:
	s_or_b32 exec_lo, exec_lo, s4
	v_min_i32_e32 v24, 0, v18
	v_dual_cndmask_b32 v22, v23, v22, s3 :: v_dual_cndmask_b32 v23, v26, v25, s2
	; wave barrier
	s_delay_alu instid0(VALU_DEP_2)
	v_add_min_i32_e64 v20, v24, 32, v18
	ds_store_2addr_b64 v17, v[4:5], v[6:7] offset1:1
	v_lshl_add_u32 v6, v23, 3, v16
	; wave barrier
	v_add_min_i32_e64 v21, v20, 32, v18
	v_min_i32_e32 v18, v18, v19
	v_lshl_add_u32 v4, v22, 3, v16
	s_wait_dscnt 0x1
	v_cndmask_b32_e64 v13, v13, v15, s2
	ds_load_b64 v[4:5], v4
	ds_load_b64 v[6:7], v6
	v_dual_sub_nc_u32 v19, v21, v20 :: v_dual_cndmask_b32 v10, v8, v10, s3
	v_sub_nc_u32_e32 v23, v20, v24
	v_lshl_add_u32 v8, v24, 3, v16
	s_delay_alu instid0(VALU_DEP_3)
	v_sub_nc_u32_e32 v22, v18, v19
	v_cmp_ge_i32_e64 s1, v18, v19
	v_cndmask_b32_e64 v11, v9, v11, s3
	v_dual_cndmask_b32 v12, v12, v14, s2 :: v_dual_min_i32 v9, v18, v23
	s_mov_b32 s2, exec_lo
	v_cndmask_b32_e64 v19, 0, v22, s1
	; wave barrier
	ds_store_2addr_b64 v17, v[10:11], v[12:13] offset1:1
	; wave barrier
	v_cmpx_lt_i32_e64 v19, v9
	s_cbranch_execz .LBB15_116
; %bb.109:
	v_dual_lshlrev_b32 v10, 3, v20 :: v_dual_lshlrev_b32 v11, 3, v18
	s_mov_b32 s3, 0
                                        ; implicit-def: $sgpr4
	s_delay_alu instid0(VALU_DEP_1)
	v_add3_u32 v10, v16, v10, v11
	s_branch .LBB15_112
.LBB15_110:                             ;   in Loop: Header=BB15_112 Depth=1
	s_or_b32 exec_lo, exec_lo, s7
	s_delay_alu instid0(SALU_CYCLE_1) | instskip(SKIP_1) | instid1(SALU_CYCLE_1)
	s_and_not1_b32 s1, s4, exec_lo
	s_and_b32 s4, s6, exec_lo
	s_or_b32 s4, s1, s4
.LBB15_111:                             ;   in Loop: Header=BB15_112 Depth=1
	s_or_b32 exec_lo, exec_lo, s5
	v_dual_add_nc_u32 v12, 1, v11 :: v_dual_cndmask_b32 v9, v9, v11, s4
	s_delay_alu instid0(VALU_DEP_1) | instskip(NEXT) | instid1(VALU_DEP_1)
	v_cndmask_b32_e64 v19, v12, v19, s4
	v_cmp_ge_i32_e64 s1, v19, v9
	s_or_b32 s3, s1, s3
	s_delay_alu instid0(SALU_CYCLE_1)
	s_and_not1_b32 exec_lo, exec_lo, s3
	s_cbranch_execz .LBB15_115
.LBB15_112:                             ; =>This Inner Loop Header: Depth=1
	v_sub_nc_u32_e32 v11, v9, v19
	s_or_b32 s4, s4, exec_lo
	s_mov_b32 s5, exec_lo
	s_delay_alu instid0(VALU_DEP_1) | instskip(NEXT) | instid1(VALU_DEP_1)
	v_lshrrev_b32_e32 v11, 1, v11
	v_add_nc_u32_e32 v11, v11, v19
	s_delay_alu instid0(VALU_DEP_1) | instskip(SKIP_1) | instid1(VALU_DEP_2)
	v_not_b32_e32 v13, v11
	v_lshl_add_u32 v12, v11, 3, v8
	v_lshl_add_u32 v13, v13, 3, v10
	ds_load_b32 v14, v12
	ds_load_b32 v15, v13
	s_wait_dscnt 0x0
	v_cmpx_nlt_f32_e32 v15, v14
	s_cbranch_execz .LBB15_111
; %bb.113:                              ;   in Loop: Header=BB15_112 Depth=1
	s_mov_b32 s6, 0
	s_mov_b32 s7, exec_lo
	v_cmpx_eq_f32_e32 v15, v14
	s_cbranch_execz .LBB15_110
; %bb.114:                              ;   in Loop: Header=BB15_112 Depth=1
	ds_load_b32 v13, v13 offset:4
	ds_load_b32 v12, v12 offset:4
	s_wait_dscnt 0x0
	v_cmp_lt_f32_e64 s1, v13, v12
	s_and_b32 s6, s1, exec_lo
	s_branch .LBB15_110
.LBB15_115:
	s_or_b32 exec_lo, exec_lo, s3
.LBB15_116:
	s_delay_alu instid0(SALU_CYCLE_1) | instskip(SKIP_2) | instid1(VALU_DEP_2)
	s_or_b32 exec_lo, exec_lo, s2
	v_add_nc_u32_e32 v9, v18, v20
	v_lshl_add_u32 v14, v19, 3, v8
	v_sub_nc_u32_e32 v18, v9, v19
	s_delay_alu instid0(VALU_DEP_1) | instskip(SKIP_4) | instid1(SALU_CYCLE_1)
	v_lshl_add_u32 v22, v18, 3, v16
	v_cmp_le_i32_e64 s1, v21, v18
	ds_load_b64 v[8:9], v14
	ds_load_b64 v[10:11], v22
	s_and_saveexec_b32 s2, s1
	s_xor_b32 s1, exec_lo, s2
	s_delay_alu instid0(SALU_CYCLE_1)
	s_or_saveexec_b32 s4, s1
	v_add_nc_u32_e32 v19, v19, v24
	s_mov_b32 s3, 0
	s_xor_b32 exec_lo, exec_lo, s4
	s_cbranch_execz .LBB15_122
; %bb.117:
	s_delay_alu instid0(VALU_DEP_1)
	v_cmp_gt_i32_e64 s1, v20, v19
	s_wait_dscnt 0x0
	v_cmp_nlt_f32_e64 s2, v10, v8
	s_and_b32 s3, s1, s2
	s_mov_b32 s1, -1
	s_and_saveexec_b32 s2, s3
	s_cbranch_execz .LBB15_121
; %bb.118:
	s_mov_b32 s3, 0
	s_mov_b32 s5, exec_lo
	v_cmpx_eq_f32_e32 v10, v8
; %bb.119:
	v_cmp_lt_f32_e64 s1, v11, v9
	s_and_b32 s3, s1, exec_lo
; %bb.120:
	s_or_b32 exec_lo, exec_lo, s5
	s_delay_alu instid0(SALU_CYCLE_1)
	s_or_not1_b32 s1, s3, exec_lo
.LBB15_121:
	s_or_b32 exec_lo, exec_lo, s2
	s_delay_alu instid0(SALU_CYCLE_1)
	s_and_b32 s3, s1, exec_lo
.LBB15_122:
	s_or_b32 exec_lo, exec_lo, s4
	s_xor_b32 s1, s3, -1
                                        ; implicit-def: $vgpr12_vgpr13
	s_delay_alu instid0(SALU_CYCLE_1) | instskip(NEXT) | instid1(SALU_CYCLE_1)
	s_and_saveexec_b32 s2, s1
	s_xor_b32 s1, exec_lo, s2
; %bb.123:
	ds_load_b64 v[12:13], v14 offset:8
                                        ; implicit-def: $vgpr22
; %bb.124:
	s_or_saveexec_b32 s1, s1
	s_wait_dscnt 0x0
	v_mov_b64_e32 v[14:15], v[10:11]
	s_xor_b32 exec_lo, exec_lo, s1
; %bb.125:
	ds_load_b64 v[14:15], v22 offset:8
	v_mov_b64_e32 v[12:13], v[8:9]
; %bb.126:
	s_or_b32 exec_lo, exec_lo, s1
	v_dual_add_nc_u32 v22, 1, v18 :: v_dual_add_nc_u32 v23, 1, v19
	s_mov_b32 s2, 0
	s_mov_b32 s4, exec_lo
	s_delay_alu instid0(VALU_DEP_1) | instskip(NEXT) | instid1(VALU_DEP_1)
	v_dual_cndmask_b32 v22, v18, v22, s3 :: v_dual_cndmask_b32 v23, v23, v19, s3
	v_cmpx_lt_i32_e64 v22, v21
	s_cbranch_execz .LBB15_132
; %bb.127:
	s_delay_alu instid0(VALU_DEP_2)
	v_cmp_lt_i32_e64 s1, v23, v20
	s_wait_dscnt 0x0
	v_cmp_nlt_f32_e64 s2, v14, v12
	s_and_b32 s5, s1, s2
	s_mov_b32 s1, -1
	s_and_saveexec_b32 s2, s5
	s_cbranch_execz .LBB15_131
; %bb.128:
	s_mov_b32 s5, 0
	s_mov_b32 s6, exec_lo
	v_cmpx_eq_f32_e32 v14, v12
; %bb.129:
	v_cmp_lt_f32_e64 s1, v15, v13
	s_and_b32 s5, s1, exec_lo
; %bb.130:
	s_or_b32 exec_lo, exec_lo, s6
	s_delay_alu instid0(SALU_CYCLE_1)
	s_or_not1_b32 s1, s5, exec_lo
.LBB15_131:
	s_or_b32 exec_lo, exec_lo, s2
	s_delay_alu instid0(SALU_CYCLE_1)
	s_and_b32 s2, s1, exec_lo
.LBB15_132:
	s_or_b32 exec_lo, exec_lo, s4
	v_cndmask_b32_e64 v18, v19, v18, s3
	v_cndmask_b32_e64 v19, v23, v22, s2
	; wave barrier
	ds_store_2addr_b64 v17, v[4:5], v[6:7] offset1:1
	v_lshl_add_u32 v18, v18, 3, v16
	v_lshl_add_u32 v16, v19, 3, v16
	; wave barrier
	ds_load_b64 v[6:7], v18
	ds_load_b64 v[4:5], v16
	s_and_saveexec_b32 s1, vcc_lo
	s_cbranch_execnz .LBB15_137
; %bb.133:
	s_or_b32 exec_lo, exec_lo, s1
	s_and_saveexec_b32 s1, s0
	s_cbranch_execnz .LBB15_138
.LBB15_134:
	s_or_b32 exec_lo, exec_lo, s1
	s_and_saveexec_b32 s1, vcc_lo
	s_cbranch_execnz .LBB15_139
.LBB15_135:
	s_or_b32 exec_lo, exec_lo, s1
	s_and_saveexec_b32 s1, s0
	s_cbranch_execnz .LBB15_140
.LBB15_136:
	s_endpgm
.LBB15_137:
	v_dual_cndmask_b32 v8, v8, v10, s3 :: v_dual_cndmask_b32 v9, v9, v11, s3
	global_store_b64 v[0:1], v[8:9], off
	s_wait_xcnt 0x0
	s_or_b32 exec_lo, exec_lo, s1
	s_and_saveexec_b32 s1, s0
	s_cbranch_execz .LBB15_134
.LBB15_138:
	s_wait_dscnt 0x3
	v_dual_cndmask_b32 v9, v13, v15, s2 :: v_dual_cndmask_b32 v8, v12, v14, s2
	global_store_b64 v[0:1], v[8:9], off offset:8
	s_wait_xcnt 0x0
	s_or_b32 exec_lo, exec_lo, s1
	s_and_saveexec_b32 s1, vcc_lo
	s_cbranch_execz .LBB15_135
.LBB15_139:
	s_wait_dscnt 0x1
	global_store_b64 v[2:3], v[6:7], off
	s_wait_xcnt 0x0
	s_or_b32 exec_lo, exec_lo, s1
	s_and_saveexec_b32 s1, s0
	s_cbranch_execz .LBB15_136
.LBB15_140:
	s_wait_dscnt 0x0
	global_store_b64 v[2:3], v[4:5], off offset:8
	s_endpgm
	.section	.rodata,"a",@progbits
	.p2align	6, 0x0
	.amdhsa_kernel _Z26sort_keys_values_segmentedILj256ELj32ELj2ELb0EN10test_utils16custom_test_typeIfEEyNS0_4lessEEvPT3_PT4_PKjT5_
		.amdhsa_group_segment_fixed_size 4160
		.amdhsa_private_segment_fixed_size 0
		.amdhsa_kernarg_size 28
		.amdhsa_user_sgpr_count 2
		.amdhsa_user_sgpr_dispatch_ptr 0
		.amdhsa_user_sgpr_queue_ptr 0
		.amdhsa_user_sgpr_kernarg_segment_ptr 1
		.amdhsa_user_sgpr_dispatch_id 0
		.amdhsa_user_sgpr_kernarg_preload_length 0
		.amdhsa_user_sgpr_kernarg_preload_offset 0
		.amdhsa_user_sgpr_private_segment_size 0
		.amdhsa_wavefront_size32 1
		.amdhsa_uses_dynamic_stack 0
		.amdhsa_enable_private_segment 0
		.amdhsa_system_sgpr_workgroup_id_x 1
		.amdhsa_system_sgpr_workgroup_id_y 0
		.amdhsa_system_sgpr_workgroup_id_z 0
		.amdhsa_system_sgpr_workgroup_info 0
		.amdhsa_system_vgpr_workitem_id 0
		.amdhsa_next_free_vgpr 27
		.amdhsa_next_free_sgpr 8
		.amdhsa_named_barrier_count 0
		.amdhsa_reserve_vcc 1
		.amdhsa_float_round_mode_32 0
		.amdhsa_float_round_mode_16_64 0
		.amdhsa_float_denorm_mode_32 3
		.amdhsa_float_denorm_mode_16_64 3
		.amdhsa_fp16_overflow 0
		.amdhsa_memory_ordered 1
		.amdhsa_forward_progress 1
		.amdhsa_inst_pref_size 38
		.amdhsa_round_robin_scheduling 0
		.amdhsa_exception_fp_ieee_invalid_op 0
		.amdhsa_exception_fp_denorm_src 0
		.amdhsa_exception_fp_ieee_div_zero 0
		.amdhsa_exception_fp_ieee_overflow 0
		.amdhsa_exception_fp_ieee_underflow 0
		.amdhsa_exception_fp_ieee_inexact 0
		.amdhsa_exception_int_div_zero 0
	.end_amdhsa_kernel
	.section	.text._Z26sort_keys_values_segmentedILj256ELj32ELj2ELb0EN10test_utils16custom_test_typeIfEEyNS0_4lessEEvPT3_PT4_PKjT5_,"axG",@progbits,_Z26sort_keys_values_segmentedILj256ELj32ELj2ELb0EN10test_utils16custom_test_typeIfEEyNS0_4lessEEvPT3_PT4_PKjT5_,comdat
.Lfunc_end15:
	.size	_Z26sort_keys_values_segmentedILj256ELj32ELj2ELb0EN10test_utils16custom_test_typeIfEEyNS0_4lessEEvPT3_PT4_PKjT5_, .Lfunc_end15-_Z26sort_keys_values_segmentedILj256ELj32ELj2ELb0EN10test_utils16custom_test_typeIfEEyNS0_4lessEEvPT3_PT4_PKjT5_
                                        ; -- End function
	.set _Z26sort_keys_values_segmentedILj256ELj32ELj2ELb0EN10test_utils16custom_test_typeIfEEyNS0_4lessEEvPT3_PT4_PKjT5_.num_vgpr, 27
	.set _Z26sort_keys_values_segmentedILj256ELj32ELj2ELb0EN10test_utils16custom_test_typeIfEEyNS0_4lessEEvPT3_PT4_PKjT5_.num_agpr, 0
	.set _Z26sort_keys_values_segmentedILj256ELj32ELj2ELb0EN10test_utils16custom_test_typeIfEEyNS0_4lessEEvPT3_PT4_PKjT5_.numbered_sgpr, 8
	.set _Z26sort_keys_values_segmentedILj256ELj32ELj2ELb0EN10test_utils16custom_test_typeIfEEyNS0_4lessEEvPT3_PT4_PKjT5_.num_named_barrier, 0
	.set _Z26sort_keys_values_segmentedILj256ELj32ELj2ELb0EN10test_utils16custom_test_typeIfEEyNS0_4lessEEvPT3_PT4_PKjT5_.private_seg_size, 0
	.set _Z26sort_keys_values_segmentedILj256ELj32ELj2ELb0EN10test_utils16custom_test_typeIfEEyNS0_4lessEEvPT3_PT4_PKjT5_.uses_vcc, 1
	.set _Z26sort_keys_values_segmentedILj256ELj32ELj2ELb0EN10test_utils16custom_test_typeIfEEyNS0_4lessEEvPT3_PT4_PKjT5_.uses_flat_scratch, 0
	.set _Z26sort_keys_values_segmentedILj256ELj32ELj2ELb0EN10test_utils16custom_test_typeIfEEyNS0_4lessEEvPT3_PT4_PKjT5_.has_dyn_sized_stack, 0
	.set _Z26sort_keys_values_segmentedILj256ELj32ELj2ELb0EN10test_utils16custom_test_typeIfEEyNS0_4lessEEvPT3_PT4_PKjT5_.has_recursion, 0
	.set _Z26sort_keys_values_segmentedILj256ELj32ELj2ELb0EN10test_utils16custom_test_typeIfEEyNS0_4lessEEvPT3_PT4_PKjT5_.has_indirect_call, 0
	.section	.AMDGPU.csdata,"",@progbits
; Kernel info:
; codeLenInByte = 4792
; TotalNumSgprs: 10
; NumVgprs: 27
; ScratchSize: 0
; MemoryBound: 1
; FloatMode: 240
; IeeeMode: 1
; LDSByteSize: 4160 bytes/workgroup (compile time only)
; SGPRBlocks: 0
; VGPRBlocks: 1
; NumSGPRsForWavesPerEU: 10
; NumVGPRsForWavesPerEU: 27
; NamedBarCnt: 0
; Occupancy: 16
; WaveLimiterHint : 0
; COMPUTE_PGM_RSRC2:SCRATCH_EN: 0
; COMPUTE_PGM_RSRC2:USER_SGPR: 2
; COMPUTE_PGM_RSRC2:TRAP_HANDLER: 0
; COMPUTE_PGM_RSRC2:TGID_X_EN: 1
; COMPUTE_PGM_RSRC2:TGID_Y_EN: 0
; COMPUTE_PGM_RSRC2:TGID_Z_EN: 0
; COMPUTE_PGM_RSRC2:TIDIG_COMP_CNT: 0
	.section	.text._Z26sort_keys_values_segmentedILj32ELj32ELj1ELb0E12hip_bfloat16iN10test_utils4lessEEvPT3_PT4_PKjT5_,"axG",@progbits,_Z26sort_keys_values_segmentedILj32ELj32ELj1ELb0E12hip_bfloat16iN10test_utils4lessEEvPT3_PT4_PKjT5_,comdat
	.protected	_Z26sort_keys_values_segmentedILj32ELj32ELj1ELb0E12hip_bfloat16iN10test_utils4lessEEvPT3_PT4_PKjT5_ ; -- Begin function _Z26sort_keys_values_segmentedILj32ELj32ELj1ELb0E12hip_bfloat16iN10test_utils4lessEEvPT3_PT4_PKjT5_
	.globl	_Z26sort_keys_values_segmentedILj32ELj32ELj1ELb0E12hip_bfloat16iN10test_utils4lessEEvPT3_PT4_PKjT5_
	.p2align	8
	.type	_Z26sort_keys_values_segmentedILj32ELj32ELj1ELb0E12hip_bfloat16iN10test_utils4lessEEvPT3_PT4_PKjT5_,@function
_Z26sort_keys_values_segmentedILj32ELj32ELj1ELb0E12hip_bfloat16iN10test_utils4lessEEvPT3_PT4_PKjT5_: ; @_Z26sort_keys_values_segmentedILj32ELj32ELj1ELb0E12hip_bfloat16iN10test_utils4lessEEvPT3_PT4_PKjT5_
; %bb.0:
	s_load_b64 s[2:3], s[0:1], 0x10
	s_bfe_u32 s4, ttmp6, 0x4000c
	s_and_b32 s5, ttmp6, 15
	s_add_co_i32 s4, s4, 1
	s_getreg_b32 s6, hwreg(HW_REG_IB_STS2, 6, 4)
	s_mul_i32 s4, ttmp9, s4
	v_mbcnt_lo_u32_b32 v7, -1, 0
	s_add_co_i32 s5, s5, s4
	s_cmp_eq_u32 s6, 0
	s_mov_b32 s7, 0
	s_cselect_b32 s4, ttmp9, s5
	s_delay_alu instid0(SALU_CYCLE_1) | instskip(SKIP_1) | instid1(SALU_CYCLE_1)
	v_dual_mov_b32 v1, 0 :: v_dual_mov_b32 v0, s4
	s_lshl_b32 s6, s4, 5
                                        ; implicit-def: $vgpr13
	s_lshl_b64 s[4:5], s[6:7], 1
	s_wait_kmcnt 0x0
	global_load_b32 v6, v0, s[2:3] scale_offset
	s_wait_xcnt 0x0
	s_load_b128 s[0:3], s[0:1], 0x0
	v_lshlrev_b32_e32 v0, 1, v7
	s_wait_kmcnt 0x0
	s_add_nc_u64 s[4:5], s[0:1], s[4:5]
	s_wait_loadcnt 0x0
	v_cmp_lt_u32_e32 vcc_lo, v7, v6
	s_and_saveexec_b32 s0, vcc_lo
	s_cbranch_execz .LBB16_2
; %bb.1:
	v_add_nc_u64_e32 v[2:3], s[4:5], v[0:1]
	global_load_u16 v13, v[2:3], off
.LBB16_2:
	s_wait_xcnt 0x0
	s_or_b32 exec_lo, exec_lo, s0
	v_lshl_add_u64 v[2:3], s[6:7], 2, s[2:3]
	v_lshlrev_b32_e32 v4, 2, v7
                                        ; implicit-def: $vgpr5
	s_and_saveexec_b32 s0, vcc_lo
	s_cbranch_execz .LBB16_4
; %bb.3:
	v_mov_b32_e32 v5, 0
	s_delay_alu instid0(VALU_DEP_1)
	v_add_nc_u64_e32 v[8:9], v[2:3], v[4:5]
	global_load_b32 v5, v[8:9], off
.LBB16_4:
	s_wait_xcnt 0x0
	s_or_b32 exec_lo, exec_lo, s0
	v_and_b32_e32 v1, 30, v7
	v_and_b32_e32 v10, 1, v7
	s_mov_b32 s1, exec_lo
	; wave barrier
	s_delay_alu instid0(VALU_DEP_2) | instskip(SKIP_3) | instid1(VALU_DEP_1)
	v_min_i32_e32 v9, v6, v1
	s_wait_loadcnt 0x0
	ds_store_b16 v0, v13
	; wave barrier
	v_add_min_i32_e64 v8, v9, 1, v6
	v_add_min_i32_e64 v1, v8, 1, v6
	s_delay_alu instid0(VALU_DEP_1) | instskip(NEXT) | instid1(VALU_DEP_1)
	v_dual_sub_nc_u32 v11, v1, v8 :: v_dual_min_i32 v10, v6, v10
	v_dual_sub_nc_u32 v14, v8, v9 :: v_dual_sub_nc_u32 v12, v10, v11
	v_cmp_ge_i32_e64 s0, v10, v11
	s_delay_alu instid0(VALU_DEP_1) | instskip(NEXT) | instid1(VALU_DEP_3)
	v_dual_cndmask_b32 v11, 0, v12, s0 :: v_dual_lshlrev_b32 v12, 1, v9
	v_min_i32_e32 v14, v10, v14
	s_delay_alu instid0(VALU_DEP_1)
	v_cmpx_lt_i32_e64 v11, v14
	s_cbranch_execz .LBB16_8
; %bb.5:
	v_lshlrev_b32_e32 v13, 1, v10
	s_mov_b32 s2, 0
	s_delay_alu instid0(VALU_DEP_1)
	v_lshl_add_u32 v13, v8, 1, v13
.LBB16_6:                               ; =>This Inner Loop Header: Depth=1
	v_sub_nc_u32_e32 v15, v14, v11
	s_delay_alu instid0(VALU_DEP_1) | instskip(NEXT) | instid1(VALU_DEP_1)
	v_lshrrev_b32_e32 v15, 1, v15
	v_add_nc_u32_e32 v15, v15, v11
	s_delay_alu instid0(VALU_DEP_1) | instskip(SKIP_1) | instid1(VALU_DEP_2)
	v_not_b32_e32 v16, v15
	v_lshl_add_u32 v17, v15, 1, v12
	v_lshl_add_u32 v16, v16, 1, v13
	ds_load_u16 v17, v17
	ds_load_u16 v16, v16
	s_wait_dscnt 0x0
	v_dual_lshlrev_b32 v17, 16, v17 :: v_dual_lshlrev_b32 v16, 16, v16
	s_delay_alu instid0(VALU_DEP_1) | instskip(SKIP_1) | instid1(VALU_DEP_1)
	v_cmp_lt_f32_e64 s0, v16, v17
	v_add_nc_u32_e32 v18, 1, v15
	v_cndmask_b32_e64 v11, v18, v11, s0
	v_cndmask_b32_e64 v14, v14, v15, s0
	s_delay_alu instid0(VALU_DEP_1) | instskip(SKIP_1) | instid1(SALU_CYCLE_1)
	v_cmp_ge_i32_e64 s0, v11, v14
	s_or_b32 s2, s0, s2
	s_and_not1_b32 exec_lo, exec_lo, s2
	s_cbranch_execnz .LBB16_6
; %bb.7:
	s_or_b32 exec_lo, exec_lo, s2
.LBB16_8:
	s_delay_alu instid0(SALU_CYCLE_1) | instskip(SKIP_1) | instid1(VALU_DEP_1)
	s_or_b32 exec_lo, exec_lo, s1
	v_dual_add_nc_u32 v10, v8, v10 :: v_dual_bitop2_b32 v15, 28, v7 bitop3:0x40
	v_dual_add_nc_u32 v9, v11, v9 :: v_dual_sub_nc_u32 v13, v10, v11
	v_lshl_add_u32 v10, v11, 1, v12
	s_delay_alu instid0(VALU_DEP_2) | instskip(NEXT) | instid1(VALU_DEP_3)
	v_cmp_le_i32_e64 s0, v8, v9
	v_lshlrev_b32_e32 v12, 1, v13
	v_cmp_gt_i32_e64 s2, v1, v13
	v_add_nc_u32_e32 v1, v0, v0
	ds_load_u16 v14, v10
	ds_load_u16 v12, v12
	; wave barrier
	ds_store_b32 v1, v5
	; wave barrier
	s_wait_dscnt 0x1
	v_dual_lshlrev_b32 v10, 16, v14 :: v_dual_lshlrev_b32 v11, 16, v12
	s_delay_alu instid0(VALU_DEP_1) | instskip(SKIP_4) | instid1(SALU_CYCLE_1)
	v_cmp_lt_f32_e64 s1, v11, v10
	v_and_b32_e32 v11, 3, v7
	s_or_b32 s0, s0, s1
	s_mov_b32 s1, exec_lo
	s_and_b32 s0, s2, s0
	v_dual_cndmask_b32 v9, v9, v13, s0 :: v_dual_min_i32 v10, v6, v15
	v_cndmask_b32_e64 v15, v14, v12, s0
	s_mov_b32 s2, 0
	v_min_i32_e32 v11, v6, v11
	s_delay_alu instid0(VALU_DEP_3) | instskip(SKIP_1) | instid1(VALU_DEP_2)
	v_add_min_i32_e64 v8, v10, 2, v6
	v_lshlrev_b32_e32 v9, 2, v9
	v_add_min_i32_e64 v5, v8, 2, v6
	ds_load_b32 v9, v9
	; wave barrier
	v_dual_sub_nc_u32 v14, v8, v10 :: v_dual_sub_nc_u32 v12, v5, v8
	ds_store_b16 v0, v15
	; wave barrier
	v_dual_sub_nc_u32 v13, v11, v12 :: v_dual_min_i32 v14, v11, v14
	v_cmp_ge_i32_e64 s0, v11, v12
	s_delay_alu instid0(VALU_DEP_1) | instskip(NEXT) | instid1(VALU_DEP_1)
	v_dual_cndmask_b32 v12, 0, v13, s0 :: v_dual_lshlrev_b32 v13, 1, v10
	v_cmpx_lt_i32_e64 v12, v14
	s_cbranch_execz .LBB16_12
; %bb.9:
	v_lshlrev_b32_e32 v15, 1, v11
	s_delay_alu instid0(VALU_DEP_1)
	v_lshl_add_u32 v15, v8, 1, v15
.LBB16_10:                              ; =>This Inner Loop Header: Depth=1
	v_sub_nc_u32_e32 v16, v14, v12
	s_delay_alu instid0(VALU_DEP_1) | instskip(NEXT) | instid1(VALU_DEP_1)
	v_lshrrev_b32_e32 v16, 1, v16
	v_add_nc_u32_e32 v16, v16, v12
	s_delay_alu instid0(VALU_DEP_1) | instskip(SKIP_1) | instid1(VALU_DEP_2)
	v_not_b32_e32 v17, v16
	v_lshl_add_u32 v18, v16, 1, v13
	v_lshl_add_u32 v17, v17, 1, v15
	ds_load_u16 v18, v18
	ds_load_u16 v17, v17
	s_wait_dscnt 0x0
	v_dual_lshlrev_b32 v18, 16, v18 :: v_dual_lshlrev_b32 v17, 16, v17
	s_delay_alu instid0(VALU_DEP_1) | instskip(SKIP_1) | instid1(VALU_DEP_1)
	v_cmp_lt_f32_e64 s0, v17, v18
	v_add_nc_u32_e32 v19, 1, v16
	v_cndmask_b32_e64 v12, v19, v12, s0
	v_cndmask_b32_e64 v14, v14, v16, s0
	s_delay_alu instid0(VALU_DEP_1) | instskip(SKIP_1) | instid1(SALU_CYCLE_1)
	v_cmp_ge_i32_e64 s0, v12, v14
	s_or_b32 s2, s0, s2
	s_and_not1_b32 exec_lo, exec_lo, s2
	s_cbranch_execnz .LBB16_10
; %bb.11:
	s_or_b32 exec_lo, exec_lo, s2
.LBB16_12:
	s_delay_alu instid0(SALU_CYCLE_1) | instskip(SKIP_2) | instid1(VALU_DEP_2)
	s_or_b32 exec_lo, exec_lo, s1
	v_add_nc_u32_e32 v11, v8, v11
	v_lshl_add_u32 v13, v12, 1, v13
	v_dual_sub_nc_u32 v11, v11, v12 :: v_dual_bitop2_b32 v16, 24, v7 bitop3:0x40
	s_delay_alu instid0(VALU_DEP_1) | instskip(NEXT) | instid1(VALU_DEP_1)
	v_dual_add_nc_u32 v12, v12, v10 :: v_dual_lshlrev_b32 v14, 1, v11
	v_cmp_le_i32_e64 s0, v8, v12
	v_cmp_gt_i32_e64 s2, v5, v11
	ds_load_u16 v13, v13
	ds_load_u16 v14, v14
	; wave barrier
	s_wait_dscnt 0x3
	ds_store_b32 v1, v9
	; wave barrier
	s_wait_dscnt 0x1
	v_dual_lshlrev_b32 v10, 16, v13 :: v_dual_lshlrev_b32 v15, 16, v14
	s_delay_alu instid0(VALU_DEP_1)
	v_cmp_lt_f32_e64 s1, v15, v10
	s_or_b32 s0, s0, s1
	s_mov_b32 s1, exec_lo
	s_and_b32 s0, s2, s0
	s_mov_b32 s2, 0
	v_dual_cndmask_b32 v15, v13, v14, s0 :: v_dual_min_i32 v10, v6, v16
	v_cndmask_b32_e64 v8, v12, v11, s0
	v_and_b32_e32 v11, 7, v7
	s_delay_alu instid0(VALU_DEP_3) | instskip(NEXT) | instid1(VALU_DEP_3)
	v_add_min_i32_e64 v5, v10, 4, v6
	v_lshlrev_b32_e32 v8, 2, v8
	s_delay_alu instid0(VALU_DEP_2)
	v_add_min_i32_e64 v9, v5, 4, v6
	ds_load_b32 v8, v8
	v_min_i32_e32 v11, v6, v11
	; wave barrier
	v_sub_nc_u32_e32 v12, v9, v5
	ds_store_b16 v0, v15
	; wave barrier
	v_dual_sub_nc_u32 v14, v5, v10 :: v_dual_sub_nc_u32 v13, v11, v12
	v_cmp_ge_i32_e64 s0, v11, v12
	s_delay_alu instid0(VALU_DEP_1) | instskip(SKIP_1) | instid1(VALU_DEP_2)
	v_dual_cndmask_b32 v12, 0, v13, s0 :: v_dual_min_i32 v14, v11, v14
	v_lshlrev_b32_e32 v13, 1, v10
	v_cmpx_lt_i32_e64 v12, v14
	s_cbranch_execz .LBB16_16
; %bb.13:
	v_lshlrev_b32_e32 v15, 1, v11
	s_delay_alu instid0(VALU_DEP_1)
	v_lshl_add_u32 v15, v5, 1, v15
.LBB16_14:                              ; =>This Inner Loop Header: Depth=1
	v_sub_nc_u32_e32 v16, v14, v12
	s_delay_alu instid0(VALU_DEP_1) | instskip(NEXT) | instid1(VALU_DEP_1)
	v_lshrrev_b32_e32 v16, 1, v16
	v_add_nc_u32_e32 v16, v16, v12
	s_delay_alu instid0(VALU_DEP_1) | instskip(SKIP_1) | instid1(VALU_DEP_2)
	v_not_b32_e32 v17, v16
	v_lshl_add_u32 v18, v16, 1, v13
	v_lshl_add_u32 v17, v17, 1, v15
	ds_load_u16 v18, v18
	ds_load_u16 v17, v17
	s_wait_dscnt 0x0
	v_dual_lshlrev_b32 v18, 16, v18 :: v_dual_lshlrev_b32 v17, 16, v17
	s_delay_alu instid0(VALU_DEP_1) | instskip(SKIP_1) | instid1(VALU_DEP_1)
	v_cmp_lt_f32_e64 s0, v17, v18
	v_add_nc_u32_e32 v19, 1, v16
	v_cndmask_b32_e64 v12, v19, v12, s0
	v_cndmask_b32_e64 v14, v14, v16, s0
	s_delay_alu instid0(VALU_DEP_1) | instskip(SKIP_1) | instid1(SALU_CYCLE_1)
	v_cmp_ge_i32_e64 s0, v12, v14
	s_or_b32 s2, s0, s2
	s_and_not1_b32 exec_lo, exec_lo, s2
	s_cbranch_execnz .LBB16_14
; %bb.15:
	s_or_b32 exec_lo, exec_lo, s2
.LBB16_16:
	s_delay_alu instid0(SALU_CYCLE_1) | instskip(SKIP_2) | instid1(VALU_DEP_2)
	s_or_b32 exec_lo, exec_lo, s1
	v_add_nc_u32_e32 v11, v5, v11
	v_lshl_add_u32 v13, v12, 1, v13
	v_dual_sub_nc_u32 v11, v11, v12 :: v_dual_bitop2_b32 v16, 16, v7 bitop3:0x40
	s_delay_alu instid0(VALU_DEP_1) | instskip(NEXT) | instid1(VALU_DEP_1)
	v_dual_add_nc_u32 v12, v12, v10 :: v_dual_lshlrev_b32 v14, 1, v11
	v_cmp_le_i32_e64 s0, v5, v12
	ds_load_u16 v13, v13
	ds_load_u16 v14, v14
	; wave barrier
	s_wait_dscnt 0x3
	ds_store_b32 v1, v8
	; wave barrier
	s_wait_dscnt 0x1
	v_dual_lshlrev_b32 v10, 16, v13 :: v_dual_lshlrev_b32 v15, 16, v14
	v_cmp_gt_i32_e64 s2, v9, v11
	s_delay_alu instid0(VALU_DEP_2)
	v_cmp_lt_f32_e64 s1, v15, v10
	s_or_b32 s0, s0, s1
	s_mov_b32 s1, exec_lo
	s_and_b32 s0, s2, s0
	s_mov_b32 s2, 0
	v_dual_cndmask_b32 v15, v13, v14, s0 :: v_dual_min_i32 v10, v6, v16
	v_cndmask_b32_e64 v5, v12, v11, s0
	v_and_b32_e32 v11, 15, v7
	s_delay_alu instid0(VALU_DEP_3) | instskip(NEXT) | instid1(VALU_DEP_3)
	v_add_min_i32_e64 v9, v10, 8, v6
	v_lshlrev_b32_e32 v5, 2, v5
	s_delay_alu instid0(VALU_DEP_2)
	v_add_min_i32_e64 v8, v9, 8, v6
	ds_load_b32 v5, v5
	v_min_i32_e32 v11, v6, v11
	; wave barrier
	v_sub_nc_u32_e32 v12, v8, v9
	ds_store_b16 v0, v15
	; wave barrier
	v_dual_sub_nc_u32 v14, v9, v10 :: v_dual_sub_nc_u32 v13, v11, v12
	v_cmp_ge_i32_e64 s0, v11, v12
	s_delay_alu instid0(VALU_DEP_1) | instskip(SKIP_1) | instid1(VALU_DEP_2)
	v_dual_cndmask_b32 v12, 0, v13, s0 :: v_dual_min_i32 v14, v11, v14
	v_lshlrev_b32_e32 v13, 1, v10
	v_cmpx_lt_i32_e64 v12, v14
	s_cbranch_execz .LBB16_20
; %bb.17:
	v_lshlrev_b32_e32 v15, 1, v11
	s_delay_alu instid0(VALU_DEP_1)
	v_lshl_add_u32 v15, v9, 1, v15
.LBB16_18:                              ; =>This Inner Loop Header: Depth=1
	v_sub_nc_u32_e32 v16, v14, v12
	s_delay_alu instid0(VALU_DEP_1) | instskip(NEXT) | instid1(VALU_DEP_1)
	v_lshrrev_b32_e32 v16, 1, v16
	v_add_nc_u32_e32 v16, v16, v12
	s_delay_alu instid0(VALU_DEP_1) | instskip(SKIP_1) | instid1(VALU_DEP_2)
	v_not_b32_e32 v17, v16
	v_lshl_add_u32 v18, v16, 1, v13
	v_lshl_add_u32 v17, v17, 1, v15
	ds_load_u16 v18, v18
	ds_load_u16 v17, v17
	s_wait_dscnt 0x0
	v_dual_lshlrev_b32 v18, 16, v18 :: v_dual_lshlrev_b32 v17, 16, v17
	s_delay_alu instid0(VALU_DEP_1) | instskip(SKIP_1) | instid1(VALU_DEP_1)
	v_cmp_lt_f32_e64 s0, v17, v18
	v_add_nc_u32_e32 v19, 1, v16
	v_cndmask_b32_e64 v12, v19, v12, s0
	v_cndmask_b32_e64 v14, v14, v16, s0
	s_delay_alu instid0(VALU_DEP_1) | instskip(SKIP_1) | instid1(SALU_CYCLE_1)
	v_cmp_ge_i32_e64 s0, v12, v14
	s_or_b32 s2, s0, s2
	s_and_not1_b32 exec_lo, exec_lo, s2
	s_cbranch_execnz .LBB16_18
; %bb.19:
	s_or_b32 exec_lo, exec_lo, s2
.LBB16_20:
	s_delay_alu instid0(SALU_CYCLE_1) | instskip(SKIP_2) | instid1(VALU_DEP_2)
	s_or_b32 exec_lo, exec_lo, s1
	v_dual_add_nc_u32 v11, v9, v11 :: v_dual_add_nc_u32 v10, v12, v10
	v_lshl_add_u32 v13, v12, 1, v13
	v_sub_nc_u32_e32 v11, v11, v12
	s_delay_alu instid0(VALU_DEP_3) | instskip(NEXT) | instid1(VALU_DEP_2)
	v_cmp_le_i32_e64 s0, v9, v10
	v_dual_lshlrev_b32 v14, 1, v11 :: v_dual_min_i32 v9, 0, v6
	ds_load_u16 v13, v13
	ds_load_u16 v14, v14
	; wave barrier
	s_wait_dscnt 0x3
	ds_store_b32 v1, v5
	; wave barrier
	s_wait_dscnt 0x1
	v_dual_lshlrev_b32 v12, 16, v13 :: v_dual_lshlrev_b32 v15, 16, v14
	v_cmp_gt_i32_e64 s2, v8, v11
	v_add_min_i32_e64 v8, v9, 16, v6
	s_delay_alu instid0(VALU_DEP_3) | instskip(NEXT) | instid1(VALU_DEP_2)
	v_cmp_lt_f32_e64 s1, v15, v12
	v_add_min_i32_e64 v5, v8, 16, v6
	v_sub_nc_u32_e32 v12, v8, v9
	s_or_b32 s0, s0, s1
	s_mov_b32 s1, exec_lo
	s_and_b32 s0, s2, s0
	s_mov_b32 s2, 0
	v_dual_cndmask_b32 v10, v10, v11, s0 :: v_dual_cndmask_b32 v13, v13, v14, s0
	s_delay_alu instid0(VALU_DEP_1)
	v_dual_lshlrev_b32 v11, 2, v10 :: v_dual_min_i32 v10, v6, v7
	v_sub_nc_u32_e32 v6, v5, v8
	ds_load_b32 v7, v11
	v_sub_nc_u32_e32 v11, v10, v6
	v_cmp_ge_i32_e64 s0, v10, v6
	; wave barrier
	v_min_i32_e32 v12, v10, v12
	ds_store_b16 v0, v13
	v_dual_cndmask_b32 v6, 0, v11, s0 :: v_dual_lshlrev_b32 v11, 1, v9
	; wave barrier
	s_delay_alu instid0(VALU_DEP_1)
	v_cmpx_lt_i32_e64 v6, v12
	s_cbranch_execz .LBB16_24
; %bb.21:
	v_lshlrev_b32_e32 v13, 1, v10
	s_delay_alu instid0(VALU_DEP_1)
	v_lshl_add_u32 v13, v8, 1, v13
.LBB16_22:                              ; =>This Inner Loop Header: Depth=1
	v_sub_nc_u32_e32 v14, v12, v6
	s_delay_alu instid0(VALU_DEP_1) | instskip(NEXT) | instid1(VALU_DEP_1)
	v_lshrrev_b32_e32 v14, 1, v14
	v_add_nc_u32_e32 v14, v14, v6
	s_delay_alu instid0(VALU_DEP_1) | instskip(SKIP_1) | instid1(VALU_DEP_2)
	v_not_b32_e32 v15, v14
	v_lshl_add_u32 v16, v14, 1, v11
	v_lshl_add_u32 v15, v15, 1, v13
	ds_load_u16 v16, v16
	ds_load_u16 v15, v15
	s_wait_dscnt 0x0
	v_dual_lshlrev_b32 v16, 16, v16 :: v_dual_lshlrev_b32 v15, 16, v15
	s_delay_alu instid0(VALU_DEP_1) | instskip(SKIP_1) | instid1(VALU_DEP_1)
	v_cmp_lt_f32_e64 s0, v15, v16
	v_add_nc_u32_e32 v17, 1, v14
	v_cndmask_b32_e64 v6, v17, v6, s0
	v_cndmask_b32_e64 v12, v12, v14, s0
	s_delay_alu instid0(VALU_DEP_1) | instskip(SKIP_1) | instid1(SALU_CYCLE_1)
	v_cmp_ge_i32_e64 s0, v6, v12
	s_or_b32 s2, s0, s2
	s_and_not1_b32 exec_lo, exec_lo, s2
	s_cbranch_execnz .LBB16_22
; %bb.23:
	s_or_b32 exec_lo, exec_lo, s2
.LBB16_24:
	s_delay_alu instid0(SALU_CYCLE_1) | instskip(SKIP_1) | instid1(VALU_DEP_1)
	s_or_b32 exec_lo, exec_lo, s1
	v_add_nc_u32_e32 v10, v8, v10
	v_sub_nc_u32_e32 v12, v10, v6
	v_lshl_add_u32 v10, v6, 1, v11
	s_delay_alu instid0(VALU_DEP_2)
	v_lshlrev_b32_e32 v11, 1, v12
	ds_load_u16 v10, v10
	ds_load_u16 v11, v11
	; wave barrier
	s_wait_dscnt 0x3
	ds_store_b32 v1, v7
	; wave barrier
	s_and_saveexec_b32 s0, vcc_lo
	s_cbranch_execz .LBB16_26
; %bb.25:
	s_wait_dscnt 0x2
	v_dual_add_nc_u32 v1, v6, v9 :: v_dual_lshlrev_b32 v6, 16, v10
	s_wait_dscnt 0x1
	v_lshlrev_b32_e32 v7, 16, v11
	v_cmp_gt_i32_e64 s1, v5, v12
	s_delay_alu instid0(VALU_DEP_3) | instskip(NEXT) | instid1(VALU_DEP_3)
	v_cmp_le_i32_e32 vcc_lo, v8, v1
	v_cmp_lt_f32_e64 s0, v7, v6
	s_or_b32 s0, vcc_lo, s0
	s_delay_alu instid0(SALU_CYCLE_1) | instskip(SKIP_1) | instid1(VALU_DEP_1)
	s_and_b32 vcc_lo, s1, s0
	v_cndmask_b32_e32 v1, v1, v12, vcc_lo
	v_lshlrev_b32_e32 v1, 2, v1
	ds_load_b32 v6, v1
	v_mov_b32_e32 v1, 0
	s_delay_alu instid0(VALU_DEP_1) | instskip(SKIP_1) | instid1(VALU_DEP_2)
	v_mov_b32_e32 v5, v1
	v_add_nc_u64_e32 v[0:1], s[4:5], v[0:1]
	v_add_nc_u64_e32 v[2:3], v[2:3], v[4:5]
	v_cndmask_b32_e32 v4, v10, v11, vcc_lo
	global_store_b16 v[0:1], v4, off
	s_wait_dscnt 0x0
	global_store_b32 v[2:3], v6, off
.LBB16_26:
	s_endpgm
	.section	.rodata,"a",@progbits
	.p2align	6, 0x0
	.amdhsa_kernel _Z26sort_keys_values_segmentedILj32ELj32ELj1ELb0E12hip_bfloat16iN10test_utils4lessEEvPT3_PT4_PKjT5_
		.amdhsa_group_segment_fixed_size 132
		.amdhsa_private_segment_fixed_size 0
		.amdhsa_kernarg_size 28
		.amdhsa_user_sgpr_count 2
		.amdhsa_user_sgpr_dispatch_ptr 0
		.amdhsa_user_sgpr_queue_ptr 0
		.amdhsa_user_sgpr_kernarg_segment_ptr 1
		.amdhsa_user_sgpr_dispatch_id 0
		.amdhsa_user_sgpr_kernarg_preload_length 0
		.amdhsa_user_sgpr_kernarg_preload_offset 0
		.amdhsa_user_sgpr_private_segment_size 0
		.amdhsa_wavefront_size32 1
		.amdhsa_uses_dynamic_stack 0
		.amdhsa_enable_private_segment 0
		.amdhsa_system_sgpr_workgroup_id_x 1
		.amdhsa_system_sgpr_workgroup_id_y 0
		.amdhsa_system_sgpr_workgroup_id_z 0
		.amdhsa_system_sgpr_workgroup_info 0
		.amdhsa_system_vgpr_workitem_id 0
		.amdhsa_next_free_vgpr 20
		.amdhsa_next_free_sgpr 8
		.amdhsa_named_barrier_count 0
		.amdhsa_reserve_vcc 1
		.amdhsa_float_round_mode_32 0
		.amdhsa_float_round_mode_16_64 0
		.amdhsa_float_denorm_mode_32 3
		.amdhsa_float_denorm_mode_16_64 3
		.amdhsa_fp16_overflow 0
		.amdhsa_memory_ordered 1
		.amdhsa_forward_progress 1
		.amdhsa_inst_pref_size 19
		.amdhsa_round_robin_scheduling 0
		.amdhsa_exception_fp_ieee_invalid_op 0
		.amdhsa_exception_fp_denorm_src 0
		.amdhsa_exception_fp_ieee_div_zero 0
		.amdhsa_exception_fp_ieee_overflow 0
		.amdhsa_exception_fp_ieee_underflow 0
		.amdhsa_exception_fp_ieee_inexact 0
		.amdhsa_exception_int_div_zero 0
	.end_amdhsa_kernel
	.section	.text._Z26sort_keys_values_segmentedILj32ELj32ELj1ELb0E12hip_bfloat16iN10test_utils4lessEEvPT3_PT4_PKjT5_,"axG",@progbits,_Z26sort_keys_values_segmentedILj32ELj32ELj1ELb0E12hip_bfloat16iN10test_utils4lessEEvPT3_PT4_PKjT5_,comdat
.Lfunc_end16:
	.size	_Z26sort_keys_values_segmentedILj32ELj32ELj1ELb0E12hip_bfloat16iN10test_utils4lessEEvPT3_PT4_PKjT5_, .Lfunc_end16-_Z26sort_keys_values_segmentedILj32ELj32ELj1ELb0E12hip_bfloat16iN10test_utils4lessEEvPT3_PT4_PKjT5_
                                        ; -- End function
	.set _Z26sort_keys_values_segmentedILj32ELj32ELj1ELb0E12hip_bfloat16iN10test_utils4lessEEvPT3_PT4_PKjT5_.num_vgpr, 20
	.set _Z26sort_keys_values_segmentedILj32ELj32ELj1ELb0E12hip_bfloat16iN10test_utils4lessEEvPT3_PT4_PKjT5_.num_agpr, 0
	.set _Z26sort_keys_values_segmentedILj32ELj32ELj1ELb0E12hip_bfloat16iN10test_utils4lessEEvPT3_PT4_PKjT5_.numbered_sgpr, 8
	.set _Z26sort_keys_values_segmentedILj32ELj32ELj1ELb0E12hip_bfloat16iN10test_utils4lessEEvPT3_PT4_PKjT5_.num_named_barrier, 0
	.set _Z26sort_keys_values_segmentedILj32ELj32ELj1ELb0E12hip_bfloat16iN10test_utils4lessEEvPT3_PT4_PKjT5_.private_seg_size, 0
	.set _Z26sort_keys_values_segmentedILj32ELj32ELj1ELb0E12hip_bfloat16iN10test_utils4lessEEvPT3_PT4_PKjT5_.uses_vcc, 1
	.set _Z26sort_keys_values_segmentedILj32ELj32ELj1ELb0E12hip_bfloat16iN10test_utils4lessEEvPT3_PT4_PKjT5_.uses_flat_scratch, 0
	.set _Z26sort_keys_values_segmentedILj32ELj32ELj1ELb0E12hip_bfloat16iN10test_utils4lessEEvPT3_PT4_PKjT5_.has_dyn_sized_stack, 0
	.set _Z26sort_keys_values_segmentedILj32ELj32ELj1ELb0E12hip_bfloat16iN10test_utils4lessEEvPT3_PT4_PKjT5_.has_recursion, 0
	.set _Z26sort_keys_values_segmentedILj32ELj32ELj1ELb0E12hip_bfloat16iN10test_utils4lessEEvPT3_PT4_PKjT5_.has_indirect_call, 0
	.section	.AMDGPU.csdata,"",@progbits
; Kernel info:
; codeLenInByte = 2312
; TotalNumSgprs: 10
; NumVgprs: 20
; ScratchSize: 0
; MemoryBound: 0
; FloatMode: 240
; IeeeMode: 1
; LDSByteSize: 132 bytes/workgroup (compile time only)
; SGPRBlocks: 0
; VGPRBlocks: 1
; NumSGPRsForWavesPerEU: 10
; NumVGPRsForWavesPerEU: 20
; NamedBarCnt: 0
; Occupancy: 16
; WaveLimiterHint : 0
; COMPUTE_PGM_RSRC2:SCRATCH_EN: 0
; COMPUTE_PGM_RSRC2:USER_SGPR: 2
; COMPUTE_PGM_RSRC2:TRAP_HANDLER: 0
; COMPUTE_PGM_RSRC2:TGID_X_EN: 1
; COMPUTE_PGM_RSRC2:TGID_Y_EN: 0
; COMPUTE_PGM_RSRC2:TGID_Z_EN: 0
; COMPUTE_PGM_RSRC2:TIDIG_COMP_CNT: 0
	.section	.text._Z26sort_keys_values_segmentedILj32ELj32ELj1ELb0E6__halfiN10test_utils4lessEEvPT3_PT4_PKjT5_,"axG",@progbits,_Z26sort_keys_values_segmentedILj32ELj32ELj1ELb0E6__halfiN10test_utils4lessEEvPT3_PT4_PKjT5_,comdat
	.protected	_Z26sort_keys_values_segmentedILj32ELj32ELj1ELb0E6__halfiN10test_utils4lessEEvPT3_PT4_PKjT5_ ; -- Begin function _Z26sort_keys_values_segmentedILj32ELj32ELj1ELb0E6__halfiN10test_utils4lessEEvPT3_PT4_PKjT5_
	.globl	_Z26sort_keys_values_segmentedILj32ELj32ELj1ELb0E6__halfiN10test_utils4lessEEvPT3_PT4_PKjT5_
	.p2align	8
	.type	_Z26sort_keys_values_segmentedILj32ELj32ELj1ELb0E6__halfiN10test_utils4lessEEvPT3_PT4_PKjT5_,@function
_Z26sort_keys_values_segmentedILj32ELj32ELj1ELb0E6__halfiN10test_utils4lessEEvPT3_PT4_PKjT5_: ; @_Z26sort_keys_values_segmentedILj32ELj32ELj1ELb0E6__halfiN10test_utils4lessEEvPT3_PT4_PKjT5_
; %bb.0:
	s_load_b64 s[2:3], s[0:1], 0x10
	s_bfe_u32 s4, ttmp6, 0x4000c
	s_and_b32 s5, ttmp6, 15
	s_add_co_i32 s4, s4, 1
	s_getreg_b32 s6, hwreg(HW_REG_IB_STS2, 6, 4)
	s_mul_i32 s4, ttmp9, s4
	v_mbcnt_lo_u32_b32 v7, -1, 0
	s_add_co_i32 s5, s5, s4
	s_cmp_eq_u32 s6, 0
	s_mov_b32 s7, 0
	s_cselect_b32 s4, ttmp9, s5
	s_delay_alu instid0(SALU_CYCLE_1) | instskip(SKIP_1) | instid1(SALU_CYCLE_1)
	v_dual_mov_b32 v1, 0 :: v_dual_mov_b32 v0, s4
	s_lshl_b32 s6, s4, 5
                                        ; implicit-def: $vgpr13
	s_lshl_b64 s[4:5], s[6:7], 1
	s_wait_kmcnt 0x0
	global_load_b32 v6, v0, s[2:3] scale_offset
	s_wait_xcnt 0x0
	s_load_b128 s[0:3], s[0:1], 0x0
	v_lshlrev_b32_e32 v0, 1, v7
	s_wait_kmcnt 0x0
	s_add_nc_u64 s[4:5], s[0:1], s[4:5]
	s_wait_loadcnt 0x0
	v_cmp_lt_u32_e32 vcc_lo, v7, v6
	s_and_saveexec_b32 s0, vcc_lo
	s_cbranch_execz .LBB17_2
; %bb.1:
	v_add_nc_u64_e32 v[2:3], s[4:5], v[0:1]
	global_load_u16 v13, v[2:3], off
.LBB17_2:
	s_wait_xcnt 0x0
	s_or_b32 exec_lo, exec_lo, s0
	v_lshl_add_u64 v[2:3], s[6:7], 2, s[2:3]
	v_lshlrev_b32_e32 v4, 2, v7
                                        ; implicit-def: $vgpr5
	s_and_saveexec_b32 s0, vcc_lo
	s_cbranch_execz .LBB17_4
; %bb.3:
	v_mov_b32_e32 v5, 0
	s_delay_alu instid0(VALU_DEP_1)
	v_add_nc_u64_e32 v[8:9], v[2:3], v[4:5]
	global_load_b32 v5, v[8:9], off
.LBB17_4:
	s_wait_xcnt 0x0
	s_or_b32 exec_lo, exec_lo, s0
	v_and_b32_e32 v1, 30, v7
	v_and_b32_e32 v10, 1, v7
	s_mov_b32 s1, exec_lo
	; wave barrier
	s_delay_alu instid0(VALU_DEP_2) | instskip(SKIP_3) | instid1(VALU_DEP_1)
	v_min_i32_e32 v9, v6, v1
	s_wait_loadcnt 0x0
	ds_store_b16 v0, v13
	; wave barrier
	v_add_min_i32_e64 v8, v9, 1, v6
	v_add_min_i32_e64 v1, v8, 1, v6
	s_delay_alu instid0(VALU_DEP_1) | instskip(NEXT) | instid1(VALU_DEP_1)
	v_dual_sub_nc_u32 v11, v1, v8 :: v_dual_min_i32 v10, v6, v10
	v_dual_sub_nc_u32 v14, v8, v9 :: v_dual_sub_nc_u32 v12, v10, v11
	v_cmp_ge_i32_e64 s0, v10, v11
	s_delay_alu instid0(VALU_DEP_1) | instskip(NEXT) | instid1(VALU_DEP_3)
	v_dual_cndmask_b32 v11, 0, v12, s0 :: v_dual_lshlrev_b32 v12, 1, v9
	v_min_i32_e32 v14, v10, v14
	s_delay_alu instid0(VALU_DEP_1)
	v_cmpx_lt_i32_e64 v11, v14
	s_cbranch_execz .LBB17_8
; %bb.5:
	v_lshlrev_b32_e32 v13, 1, v10
	s_mov_b32 s2, 0
	s_delay_alu instid0(VALU_DEP_1)
	v_lshl_add_u32 v13, v8, 1, v13
.LBB17_6:                               ; =>This Inner Loop Header: Depth=1
	v_sub_nc_u32_e32 v15, v14, v11
	s_delay_alu instid0(VALU_DEP_1) | instskip(NEXT) | instid1(VALU_DEP_1)
	v_lshrrev_b32_e32 v15, 1, v15
	v_add_nc_u32_e32 v15, v15, v11
	s_delay_alu instid0(VALU_DEP_1) | instskip(SKIP_1) | instid1(VALU_DEP_2)
	v_not_b32_e32 v16, v15
	v_lshl_add_u32 v17, v15, 1, v12
	v_lshl_add_u32 v16, v16, 1, v13
	ds_load_u16 v17, v17
	ds_load_u16 v16, v16
	s_wait_dscnt 0x0
	v_cmp_lt_f16_e64 s0, v16, v17
	v_add_nc_u32_e32 v18, 1, v15
	s_delay_alu instid0(VALU_DEP_1) | instskip(SKIP_1) | instid1(VALU_DEP_1)
	v_cndmask_b32_e64 v11, v18, v11, s0
	v_cndmask_b32_e64 v14, v14, v15, s0
	v_cmp_ge_i32_e64 s0, v11, v14
	s_or_b32 s2, s0, s2
	s_delay_alu instid0(SALU_CYCLE_1)
	s_and_not1_b32 exec_lo, exec_lo, s2
	s_cbranch_execnz .LBB17_6
; %bb.7:
	s_or_b32 exec_lo, exec_lo, s2
.LBB17_8:
	s_delay_alu instid0(SALU_CYCLE_1) | instskip(SKIP_1) | instid1(VALU_DEP_1)
	s_or_b32 exec_lo, exec_lo, s1
	v_dual_add_nc_u32 v10, v8, v10 :: v_dual_add_nc_u32 v9, v11, v9
	v_sub_nc_u32_e32 v13, v10, v11
	v_lshl_add_u32 v10, v11, 1, v12
	s_delay_alu instid0(VALU_DEP_3) | instskip(NEXT) | instid1(VALU_DEP_3)
	v_cmp_le_i32_e64 s0, v8, v9
	v_dual_lshlrev_b32 v12, 1, v13 :: v_dual_bitop2_b32 v11, 3, v7 bitop3:0x40
	ds_load_u16 v14, v10
	ds_load_u16 v12, v12
	v_cmp_gt_i32_e64 s2, v1, v13
	v_dual_add_nc_u32 v1, v0, v0 :: v_dual_bitop2_b32 v10, 28, v7 bitop3:0x40
	; wave barrier
	v_min_i32_e32 v11, v6, v11
	ds_store_b32 v1, v5
	; wave barrier
	s_wait_dscnt 0x1
	v_cmp_lt_f16_e64 s1, v12, v14
	s_or_b32 s0, s0, s1
	s_mov_b32 s1, exec_lo
	s_and_b32 s0, s2, s0
	s_delay_alu instid0(SALU_CYCLE_1) | instskip(SKIP_2) | instid1(VALU_DEP_2)
	v_dual_cndmask_b32 v9, v9, v13, s0 :: v_dual_min_i32 v10, v6, v10
	v_cndmask_b32_e64 v15, v14, v12, s0
	s_mov_b32 s2, 0
	v_add_min_i32_e64 v8, v10, 2, v6
	s_delay_alu instid0(VALU_DEP_3) | instskip(NEXT) | instid1(VALU_DEP_2)
	v_lshlrev_b32_e32 v9, 2, v9
	v_add_min_i32_e64 v5, v8, 2, v6
	ds_load_b32 v9, v9
	; wave barrier
	v_dual_sub_nc_u32 v14, v8, v10 :: v_dual_sub_nc_u32 v12, v5, v8
	ds_store_b16 v0, v15
	; wave barrier
	v_dual_sub_nc_u32 v13, v11, v12 :: v_dual_min_i32 v14, v11, v14
	v_cmp_ge_i32_e64 s0, v11, v12
	s_delay_alu instid0(VALU_DEP_1) | instskip(NEXT) | instid1(VALU_DEP_1)
	v_dual_cndmask_b32 v12, 0, v13, s0 :: v_dual_lshlrev_b32 v13, 1, v10
	v_cmpx_lt_i32_e64 v12, v14
	s_cbranch_execz .LBB17_12
; %bb.9:
	v_lshlrev_b32_e32 v15, 1, v11
	s_delay_alu instid0(VALU_DEP_1)
	v_lshl_add_u32 v15, v8, 1, v15
.LBB17_10:                              ; =>This Inner Loop Header: Depth=1
	v_sub_nc_u32_e32 v16, v14, v12
	s_delay_alu instid0(VALU_DEP_1) | instskip(NEXT) | instid1(VALU_DEP_1)
	v_lshrrev_b32_e32 v16, 1, v16
	v_add_nc_u32_e32 v16, v16, v12
	s_delay_alu instid0(VALU_DEP_1) | instskip(SKIP_1) | instid1(VALU_DEP_2)
	v_not_b32_e32 v17, v16
	v_lshl_add_u32 v18, v16, 1, v13
	v_lshl_add_u32 v17, v17, 1, v15
	ds_load_u16 v18, v18
	ds_load_u16 v17, v17
	s_wait_dscnt 0x0
	v_cmp_lt_f16_e64 s0, v17, v18
	s_delay_alu instid0(VALU_DEP_1) | instskip(NEXT) | instid1(VALU_DEP_1)
	v_dual_add_nc_u32 v19, 1, v16 :: v_dual_cndmask_b32 v14, v14, v16, s0
	v_cndmask_b32_e64 v12, v19, v12, s0
	s_delay_alu instid0(VALU_DEP_1) | instskip(SKIP_1) | instid1(SALU_CYCLE_1)
	v_cmp_ge_i32_e64 s0, v12, v14
	s_or_b32 s2, s0, s2
	s_and_not1_b32 exec_lo, exec_lo, s2
	s_cbranch_execnz .LBB17_10
; %bb.11:
	s_or_b32 exec_lo, exec_lo, s2
.LBB17_12:
	s_delay_alu instid0(SALU_CYCLE_1) | instskip(SKIP_2) | instid1(VALU_DEP_2)
	s_or_b32 exec_lo, exec_lo, s1
	v_add_nc_u32_e32 v11, v8, v11
	v_lshl_add_u32 v13, v12, 1, v13
	v_dual_sub_nc_u32 v11, v11, v12 :: v_dual_add_nc_u32 v12, v12, v10
	s_delay_alu instid0(VALU_DEP_1) | instskip(NEXT) | instid1(VALU_DEP_2)
	v_lshlrev_b32_e32 v14, 1, v11
	v_cmp_le_i32_e64 s0, v8, v12
	v_cmp_gt_i32_e64 s2, v5, v11
	ds_load_u16 v13, v13
	ds_load_u16 v14, v14
	; wave barrier
	s_wait_dscnt 0x3
	ds_store_b32 v1, v9
	; wave barrier
	s_wait_dscnt 0x1
	v_cmp_lt_f16_e64 s1, v14, v13
	s_or_b32 s0, s0, s1
	s_mov_b32 s1, exec_lo
	s_and_b32 s0, s2, s0
	s_delay_alu instid0(SALU_CYCLE_1) | instskip(SKIP_3) | instid1(VALU_DEP_2)
	v_dual_cndmask_b32 v15, v13, v14, s0 :: v_dual_bitop2_b32 v10, 24, v7 bitop3:0x40
	v_cndmask_b32_e64 v8, v12, v11, s0
	v_and_b32_e32 v11, 7, v7
	s_mov_b32 s2, 0
	v_dual_lshlrev_b32 v8, 2, v8 :: v_dual_min_i32 v10, v6, v10
	s_delay_alu instid0(VALU_DEP_1)
	v_add_min_i32_e64 v5, v10, 4, v6
	ds_load_b32 v8, v8
	; wave barrier
	v_add_min_i32_e64 v9, v5, 4, v6
	v_min_i32_e32 v11, v6, v11
	ds_store_b16 v0, v15
	; wave barrier
	v_sub_nc_u32_e32 v12, v9, v5
	s_delay_alu instid0(VALU_DEP_1) | instskip(SKIP_1) | instid1(VALU_DEP_1)
	v_dual_sub_nc_u32 v14, v5, v10 :: v_dual_sub_nc_u32 v13, v11, v12
	v_cmp_ge_i32_e64 s0, v11, v12
	v_dual_cndmask_b32 v12, 0, v13, s0 :: v_dual_min_i32 v14, v11, v14
	v_lshlrev_b32_e32 v13, 1, v10
	s_delay_alu instid0(VALU_DEP_2)
	v_cmpx_lt_i32_e64 v12, v14
	s_cbranch_execz .LBB17_16
; %bb.13:
	v_lshlrev_b32_e32 v15, 1, v11
	s_delay_alu instid0(VALU_DEP_1)
	v_lshl_add_u32 v15, v5, 1, v15
.LBB17_14:                              ; =>This Inner Loop Header: Depth=1
	v_sub_nc_u32_e32 v16, v14, v12
	s_delay_alu instid0(VALU_DEP_1) | instskip(NEXT) | instid1(VALU_DEP_1)
	v_lshrrev_b32_e32 v16, 1, v16
	v_add_nc_u32_e32 v16, v16, v12
	s_delay_alu instid0(VALU_DEP_1) | instskip(SKIP_1) | instid1(VALU_DEP_2)
	v_not_b32_e32 v17, v16
	v_lshl_add_u32 v18, v16, 1, v13
	v_lshl_add_u32 v17, v17, 1, v15
	ds_load_u16 v18, v18
	ds_load_u16 v17, v17
	s_wait_dscnt 0x0
	v_cmp_lt_f16_e64 s0, v17, v18
	s_delay_alu instid0(VALU_DEP_1) | instskip(NEXT) | instid1(VALU_DEP_1)
	v_dual_add_nc_u32 v19, 1, v16 :: v_dual_cndmask_b32 v14, v14, v16, s0
	v_cndmask_b32_e64 v12, v19, v12, s0
	s_delay_alu instid0(VALU_DEP_1) | instskip(SKIP_1) | instid1(SALU_CYCLE_1)
	v_cmp_ge_i32_e64 s0, v12, v14
	s_or_b32 s2, s0, s2
	s_and_not1_b32 exec_lo, exec_lo, s2
	s_cbranch_execnz .LBB17_14
; %bb.15:
	s_or_b32 exec_lo, exec_lo, s2
.LBB17_16:
	s_delay_alu instid0(SALU_CYCLE_1) | instskip(SKIP_2) | instid1(VALU_DEP_2)
	s_or_b32 exec_lo, exec_lo, s1
	v_add_nc_u32_e32 v11, v5, v11
	v_lshl_add_u32 v13, v12, 1, v13
	v_dual_sub_nc_u32 v11, v11, v12 :: v_dual_add_nc_u32 v12, v12, v10
	v_and_b32_e32 v10, 16, v7
	s_delay_alu instid0(VALU_DEP_2) | instskip(NEXT) | instid1(VALU_DEP_3)
	v_lshlrev_b32_e32 v14, 1, v11
	v_cmp_le_i32_e64 s0, v5, v12
	s_delay_alu instid0(VALU_DEP_3)
	v_min_i32_e32 v10, v6, v10
	v_cmp_gt_i32_e64 s2, v9, v11
	ds_load_u16 v13, v13
	ds_load_u16 v14, v14
	; wave barrier
	v_add_min_i32_e64 v9, v10, 8, v6
	s_wait_dscnt 0x3
	ds_store_b32 v1, v8
	; wave barrier
	v_add_min_i32_e64 v8, v9, 8, v6
	s_wait_dscnt 0x1
	v_cmp_lt_f16_e64 s1, v14, v13
	s_or_b32 s0, s0, s1
	s_mov_b32 s1, exec_lo
	s_and_b32 s0, s2, s0
	s_mov_b32 s2, 0
	v_dual_cndmask_b32 v15, v13, v14, s0 :: v_dual_cndmask_b32 v5, v12, v11, s0
	v_dual_sub_nc_u32 v12, v8, v9 :: v_dual_bitop2_b32 v11, 15, v7 bitop3:0x40
	s_delay_alu instid0(VALU_DEP_2) | instskip(NEXT) | instid1(VALU_DEP_2)
	v_dual_sub_nc_u32 v14, v9, v10 :: v_dual_lshlrev_b32 v5, 2, v5
	v_min_i32_e32 v11, v6, v11
	ds_load_b32 v5, v5
	v_sub_nc_u32_e32 v13, v11, v12
	v_cmp_ge_i32_e64 s0, v11, v12
	v_min_i32_e32 v14, v11, v14
	; wave barrier
	ds_store_b16 v0, v15
	v_dual_cndmask_b32 v12, 0, v13, s0 :: v_dual_lshlrev_b32 v13, 1, v10
	; wave barrier
	s_delay_alu instid0(VALU_DEP_1)
	v_cmpx_lt_i32_e64 v12, v14
	s_cbranch_execz .LBB17_20
; %bb.17:
	v_lshlrev_b32_e32 v15, 1, v11
	s_delay_alu instid0(VALU_DEP_1)
	v_lshl_add_u32 v15, v9, 1, v15
.LBB17_18:                              ; =>This Inner Loop Header: Depth=1
	v_sub_nc_u32_e32 v16, v14, v12
	s_delay_alu instid0(VALU_DEP_1) | instskip(NEXT) | instid1(VALU_DEP_1)
	v_lshrrev_b32_e32 v16, 1, v16
	v_add_nc_u32_e32 v16, v16, v12
	s_delay_alu instid0(VALU_DEP_1) | instskip(SKIP_1) | instid1(VALU_DEP_2)
	v_not_b32_e32 v17, v16
	v_lshl_add_u32 v18, v16, 1, v13
	v_lshl_add_u32 v17, v17, 1, v15
	ds_load_u16 v18, v18
	ds_load_u16 v17, v17
	s_wait_dscnt 0x0
	v_cmp_lt_f16_e64 s0, v17, v18
	s_delay_alu instid0(VALU_DEP_1) | instskip(NEXT) | instid1(VALU_DEP_1)
	v_dual_add_nc_u32 v19, 1, v16 :: v_dual_cndmask_b32 v14, v14, v16, s0
	v_cndmask_b32_e64 v12, v19, v12, s0
	s_delay_alu instid0(VALU_DEP_1) | instskip(SKIP_1) | instid1(SALU_CYCLE_1)
	v_cmp_ge_i32_e64 s0, v12, v14
	s_or_b32 s2, s0, s2
	s_and_not1_b32 exec_lo, exec_lo, s2
	s_cbranch_execnz .LBB17_18
; %bb.19:
	s_or_b32 exec_lo, exec_lo, s2
.LBB17_20:
	s_delay_alu instid0(SALU_CYCLE_1) | instskip(SKIP_2) | instid1(VALU_DEP_2)
	s_or_b32 exec_lo, exec_lo, s1
	v_dual_add_nc_u32 v11, v9, v11 :: v_dual_add_nc_u32 v10, v12, v10
	v_lshl_add_u32 v13, v12, 1, v13
	v_sub_nc_u32_e32 v11, v11, v12
	s_delay_alu instid0(VALU_DEP_3) | instskip(NEXT) | instid1(VALU_DEP_2)
	v_cmp_le_i32_e64 s0, v9, v10
	v_dual_lshlrev_b32 v14, 1, v11 :: v_dual_min_i32 v9, 0, v6
	v_cmp_gt_i32_e64 s2, v8, v11
	s_delay_alu instid0(VALU_DEP_2)
	v_add_min_i32_e64 v8, v9, 16, v6
	ds_load_u16 v13, v13
	ds_load_u16 v14, v14
	; wave barrier
	s_wait_dscnt 0x3
	ds_store_b32 v1, v5
	v_add_min_i32_e64 v5, v8, 16, v6
	; wave barrier
	v_sub_nc_u32_e32 v12, v8, v9
	s_wait_dscnt 0x1
	v_cmp_lt_f16_e64 s1, v14, v13
	s_or_b32 s0, s0, s1
	s_mov_b32 s1, exec_lo
	s_and_b32 s0, s2, s0
	s_mov_b32 s2, 0
	v_dual_cndmask_b32 v10, v10, v11, s0 :: v_dual_cndmask_b32 v13, v13, v14, s0
	s_delay_alu instid0(VALU_DEP_1)
	v_dual_lshlrev_b32 v11, 2, v10 :: v_dual_min_i32 v10, v6, v7
	v_sub_nc_u32_e32 v6, v5, v8
	ds_load_b32 v7, v11
	v_sub_nc_u32_e32 v11, v10, v6
	v_cmp_ge_i32_e64 s0, v10, v6
	; wave barrier
	v_min_i32_e32 v12, v10, v12
	ds_store_b16 v0, v13
	v_dual_cndmask_b32 v6, 0, v11, s0 :: v_dual_lshlrev_b32 v11, 1, v9
	; wave barrier
	s_delay_alu instid0(VALU_DEP_1)
	v_cmpx_lt_i32_e64 v6, v12
	s_cbranch_execz .LBB17_24
; %bb.21:
	v_lshlrev_b32_e32 v13, 1, v10
	s_delay_alu instid0(VALU_DEP_1)
	v_lshl_add_u32 v13, v8, 1, v13
.LBB17_22:                              ; =>This Inner Loop Header: Depth=1
	v_sub_nc_u32_e32 v14, v12, v6
	s_delay_alu instid0(VALU_DEP_1) | instskip(NEXT) | instid1(VALU_DEP_1)
	v_lshrrev_b32_e32 v14, 1, v14
	v_add_nc_u32_e32 v14, v14, v6
	s_delay_alu instid0(VALU_DEP_1) | instskip(SKIP_1) | instid1(VALU_DEP_2)
	v_not_b32_e32 v15, v14
	v_lshl_add_u32 v16, v14, 1, v11
	v_lshl_add_u32 v15, v15, 1, v13
	ds_load_u16 v16, v16
	ds_load_u16 v15, v15
	s_wait_dscnt 0x0
	v_cmp_lt_f16_e64 s0, v15, v16
	s_delay_alu instid0(VALU_DEP_1) | instskip(NEXT) | instid1(VALU_DEP_1)
	v_dual_add_nc_u32 v17, 1, v14 :: v_dual_cndmask_b32 v12, v12, v14, s0
	v_cndmask_b32_e64 v6, v17, v6, s0
	s_delay_alu instid0(VALU_DEP_1) | instskip(SKIP_1) | instid1(SALU_CYCLE_1)
	v_cmp_ge_i32_e64 s0, v6, v12
	s_or_b32 s2, s0, s2
	s_and_not1_b32 exec_lo, exec_lo, s2
	s_cbranch_execnz .LBB17_22
; %bb.23:
	s_or_b32 exec_lo, exec_lo, s2
.LBB17_24:
	s_delay_alu instid0(SALU_CYCLE_1) | instskip(SKIP_1) | instid1(VALU_DEP_1)
	s_or_b32 exec_lo, exec_lo, s1
	v_add_nc_u32_e32 v10, v8, v10
	v_sub_nc_u32_e32 v12, v10, v6
	v_lshl_add_u32 v10, v6, 1, v11
	s_delay_alu instid0(VALU_DEP_2)
	v_lshlrev_b32_e32 v11, 1, v12
	ds_load_u16 v10, v10
	ds_load_u16 v11, v11
	; wave barrier
	s_wait_dscnt 0x3
	ds_store_b32 v1, v7
	; wave barrier
	s_and_saveexec_b32 s0, vcc_lo
	s_cbranch_execz .LBB17_26
; %bb.25:
	v_add_nc_u32_e32 v1, v6, v9
	s_wait_dscnt 0x1
	v_cmp_lt_f16_e32 vcc_lo, v11, v10
	v_cmp_gt_i32_e64 s1, v5, v12
	s_delay_alu instid0(VALU_DEP_3) | instskip(SKIP_1) | instid1(SALU_CYCLE_1)
	v_cmp_le_i32_e64 s0, v8, v1
	s_or_b32 s0, s0, vcc_lo
	s_and_b32 vcc_lo, s1, s0
	v_cndmask_b32_e32 v1, v1, v12, vcc_lo
	s_delay_alu instid0(VALU_DEP_1) | instskip(SKIP_2) | instid1(VALU_DEP_1)
	v_lshlrev_b32_e32 v1, 2, v1
	ds_load_b32 v6, v1
	v_mov_b32_e32 v1, 0
	v_mov_b32_e32 v5, v1
	v_add_nc_u64_e32 v[0:1], s[4:5], v[0:1]
	s_delay_alu instid0(VALU_DEP_2)
	v_add_nc_u64_e32 v[2:3], v[2:3], v[4:5]
	v_cndmask_b32_e32 v4, v10, v11, vcc_lo
	global_store_b16 v[0:1], v4, off
	s_wait_dscnt 0x0
	global_store_b32 v[2:3], v6, off
.LBB17_26:
	s_endpgm
	.section	.rodata,"a",@progbits
	.p2align	6, 0x0
	.amdhsa_kernel _Z26sort_keys_values_segmentedILj32ELj32ELj1ELb0E6__halfiN10test_utils4lessEEvPT3_PT4_PKjT5_
		.amdhsa_group_segment_fixed_size 132
		.amdhsa_private_segment_fixed_size 0
		.amdhsa_kernarg_size 28
		.amdhsa_user_sgpr_count 2
		.amdhsa_user_sgpr_dispatch_ptr 0
		.amdhsa_user_sgpr_queue_ptr 0
		.amdhsa_user_sgpr_kernarg_segment_ptr 1
		.amdhsa_user_sgpr_dispatch_id 0
		.amdhsa_user_sgpr_kernarg_preload_length 0
		.amdhsa_user_sgpr_kernarg_preload_offset 0
		.amdhsa_user_sgpr_private_segment_size 0
		.amdhsa_wavefront_size32 1
		.amdhsa_uses_dynamic_stack 0
		.amdhsa_enable_private_segment 0
		.amdhsa_system_sgpr_workgroup_id_x 1
		.amdhsa_system_sgpr_workgroup_id_y 0
		.amdhsa_system_sgpr_workgroup_id_z 0
		.amdhsa_system_sgpr_workgroup_info 0
		.amdhsa_system_vgpr_workitem_id 0
		.amdhsa_next_free_vgpr 20
		.amdhsa_next_free_sgpr 8
		.amdhsa_named_barrier_count 0
		.amdhsa_reserve_vcc 1
		.amdhsa_float_round_mode_32 0
		.amdhsa_float_round_mode_16_64 0
		.amdhsa_float_denorm_mode_32 3
		.amdhsa_float_denorm_mode_16_64 3
		.amdhsa_fp16_overflow 0
		.amdhsa_memory_ordered 1
		.amdhsa_forward_progress 1
		.amdhsa_inst_pref_size 18
		.amdhsa_round_robin_scheduling 0
		.amdhsa_exception_fp_ieee_invalid_op 0
		.amdhsa_exception_fp_denorm_src 0
		.amdhsa_exception_fp_ieee_div_zero 0
		.amdhsa_exception_fp_ieee_overflow 0
		.amdhsa_exception_fp_ieee_underflow 0
		.amdhsa_exception_fp_ieee_inexact 0
		.amdhsa_exception_int_div_zero 0
	.end_amdhsa_kernel
	.section	.text._Z26sort_keys_values_segmentedILj32ELj32ELj1ELb0E6__halfiN10test_utils4lessEEvPT3_PT4_PKjT5_,"axG",@progbits,_Z26sort_keys_values_segmentedILj32ELj32ELj1ELb0E6__halfiN10test_utils4lessEEvPT3_PT4_PKjT5_,comdat
.Lfunc_end17:
	.size	_Z26sort_keys_values_segmentedILj32ELj32ELj1ELb0E6__halfiN10test_utils4lessEEvPT3_PT4_PKjT5_, .Lfunc_end17-_Z26sort_keys_values_segmentedILj32ELj32ELj1ELb0E6__halfiN10test_utils4lessEEvPT3_PT4_PKjT5_
                                        ; -- End function
	.set _Z26sort_keys_values_segmentedILj32ELj32ELj1ELb0E6__halfiN10test_utils4lessEEvPT3_PT4_PKjT5_.num_vgpr, 20
	.set _Z26sort_keys_values_segmentedILj32ELj32ELj1ELb0E6__halfiN10test_utils4lessEEvPT3_PT4_PKjT5_.num_agpr, 0
	.set _Z26sort_keys_values_segmentedILj32ELj32ELj1ELb0E6__halfiN10test_utils4lessEEvPT3_PT4_PKjT5_.numbered_sgpr, 8
	.set _Z26sort_keys_values_segmentedILj32ELj32ELj1ELb0E6__halfiN10test_utils4lessEEvPT3_PT4_PKjT5_.num_named_barrier, 0
	.set _Z26sort_keys_values_segmentedILj32ELj32ELj1ELb0E6__halfiN10test_utils4lessEEvPT3_PT4_PKjT5_.private_seg_size, 0
	.set _Z26sort_keys_values_segmentedILj32ELj32ELj1ELb0E6__halfiN10test_utils4lessEEvPT3_PT4_PKjT5_.uses_vcc, 1
	.set _Z26sort_keys_values_segmentedILj32ELj32ELj1ELb0E6__halfiN10test_utils4lessEEvPT3_PT4_PKjT5_.uses_flat_scratch, 0
	.set _Z26sort_keys_values_segmentedILj32ELj32ELj1ELb0E6__halfiN10test_utils4lessEEvPT3_PT4_PKjT5_.has_dyn_sized_stack, 0
	.set _Z26sort_keys_values_segmentedILj32ELj32ELj1ELb0E6__halfiN10test_utils4lessEEvPT3_PT4_PKjT5_.has_recursion, 0
	.set _Z26sort_keys_values_segmentedILj32ELj32ELj1ELb0E6__halfiN10test_utils4lessEEvPT3_PT4_PKjT5_.has_indirect_call, 0
	.section	.AMDGPU.csdata,"",@progbits
; Kernel info:
; codeLenInByte = 2184
; TotalNumSgprs: 10
; NumVgprs: 20
; ScratchSize: 0
; MemoryBound: 0
; FloatMode: 240
; IeeeMode: 1
; LDSByteSize: 132 bytes/workgroup (compile time only)
; SGPRBlocks: 0
; VGPRBlocks: 1
; NumSGPRsForWavesPerEU: 10
; NumVGPRsForWavesPerEU: 20
; NamedBarCnt: 0
; Occupancy: 16
; WaveLimiterHint : 0
; COMPUTE_PGM_RSRC2:SCRATCH_EN: 0
; COMPUTE_PGM_RSRC2:USER_SGPR: 2
; COMPUTE_PGM_RSRC2:TRAP_HANDLER: 0
; COMPUTE_PGM_RSRC2:TGID_X_EN: 1
; COMPUTE_PGM_RSRC2:TGID_Y_EN: 0
; COMPUTE_PGM_RSRC2:TGID_Z_EN: 0
; COMPUTE_PGM_RSRC2:TIDIG_COMP_CNT: 0
	.section	.text._Z26sort_keys_values_segmentedILj512ELj64ELj1ELb0EsiN10test_utils4lessEEvPT3_PT4_PKjT5_,"axG",@progbits,_Z26sort_keys_values_segmentedILj512ELj64ELj1ELb0EsiN10test_utils4lessEEvPT3_PT4_PKjT5_,comdat
	.protected	_Z26sort_keys_values_segmentedILj512ELj64ELj1ELb0EsiN10test_utils4lessEEvPT3_PT4_PKjT5_ ; -- Begin function _Z26sort_keys_values_segmentedILj512ELj64ELj1ELb0EsiN10test_utils4lessEEvPT3_PT4_PKjT5_
	.globl	_Z26sort_keys_values_segmentedILj512ELj64ELj1ELb0EsiN10test_utils4lessEEvPT3_PT4_PKjT5_
	.p2align	8
	.type	_Z26sort_keys_values_segmentedILj512ELj64ELj1ELb0EsiN10test_utils4lessEEvPT3_PT4_PKjT5_,@function
_Z26sort_keys_values_segmentedILj512ELj64ELj1ELb0EsiN10test_utils4lessEEvPT3_PT4_PKjT5_: ; @_Z26sort_keys_values_segmentedILj512ELj64ELj1ELb0EsiN10test_utils4lessEEvPT3_PT4_PKjT5_
; %bb.0:
	s_load_b64 s[2:3], s[0:1], 0x10
	s_bfe_u32 s4, ttmp6, 0x4000c
	s_and_b32 s5, ttmp6, 15
	s_add_co_i32 s4, s4, 1
	s_getreg_b32 s6, hwreg(HW_REG_IB_STS2, 6, 4)
	s_mul_i32 s4, ttmp9, s4
	v_dual_mov_b32 v5, 0 :: v_dual_lshrrev_b32 v14, 6, v0
	s_add_co_i32 s5, s5, s4
	s_cmp_eq_u32 s6, 0
	v_mbcnt_lo_u32_b32 v10, -1, 0
	s_cselect_b32 s4, ttmp9, s5
                                        ; implicit-def: $vgpr17
	s_delay_alu instid0(SALU_CYCLE_1) | instskip(NEXT) | instid1(VALU_DEP_1)
	v_lshl_or_b32 v0, s4, 3, v14
	v_dual_lshlrev_b32 v2, 1, v10 :: v_dual_lshlrev_b32 v4, 6, v0
	s_wait_kmcnt 0x0
	global_load_b32 v8, v0, s[2:3] scale_offset
	s_wait_xcnt 0x0
	s_load_b128 s[0:3], s[0:1], 0x0
	s_wait_kmcnt 0x0
	v_lshl_add_u64 v[0:1], v[4:5], 1, s[0:1]
	s_wait_loadcnt 0x0
	v_cmp_lt_u32_e32 vcc_lo, v10, v8
	s_and_saveexec_b32 s0, vcc_lo
	s_cbranch_execz .LBB18_2
; %bb.1:
	v_mov_b32_e32 v3, v5
	s_delay_alu instid0(VALU_DEP_1)
	v_add_nc_u64_e32 v[6:7], v[0:1], v[2:3]
	global_load_u16 v17, v[6:7], off
.LBB18_2:
	s_wait_xcnt 0x0
	s_or_b32 exec_lo, exec_lo, s0
	v_lshl_add_u64 v[4:5], v[4:5], 2, s[2:3]
	v_lshlrev_b32_e32 v6, 2, v10
                                        ; implicit-def: $vgpr11
	s_and_saveexec_b32 s0, vcc_lo
	s_cbranch_execz .LBB18_4
; %bb.3:
	v_mov_b32_e32 v7, 0
	s_delay_alu instid0(VALU_DEP_1)
	v_add_nc_u64_e32 v[12:13], v[4:5], v[6:7]
	global_load_b32 v11, v[12:13], off
.LBB18_4:
	s_wait_xcnt 0x0
	s_or_b32 exec_lo, exec_lo, s0
	v_and_b32_e32 v3, 30, v10
	s_mov_b32 s2, 0
	s_mov_b32 s1, exec_lo
	; wave barrier
	s_delay_alu instid0(VALU_DEP_1) | instskip(NEXT) | instid1(VALU_DEP_1)
	v_min_i32_e32 v13, v8, v3
	v_add_min_i32_e64 v12, v13, 1, v8
	s_delay_alu instid0(VALU_DEP_1) | instskip(NEXT) | instid1(VALU_DEP_1)
	v_add_min_i32_e64 v9, v12, 1, v8
	v_dual_sub_nc_u32 v7, v9, v12 :: v_dual_bitop2_b32 v3, 1, v10 bitop3:0x40
	s_delay_alu instid0(VALU_DEP_1) | instskip(SKIP_1) | instid1(VALU_DEP_2)
	v_min_i32_e32 v15, v8, v3
	v_mul_u32_u24_e32 v3, 0x104, v14
	v_sub_nc_u32_e32 v16, v15, v7
	v_cmp_ge_i32_e64 s0, v15, v7
	v_mad_u32_u24 v7, 0x104, v14, v2
	s_delay_alu instid0(VALU_DEP_2)
	v_dual_cndmask_b32 v16, 0, v16, s0 :: v_dual_sub_nc_u32 v18, v12, v13
	v_lshlrev_b32_e32 v19, 1, v13
	s_wait_loadcnt 0x0
	ds_store_b16 v7, v17
	; wave barrier
	v_min_i32_e32 v18, v15, v18
	v_mad_u32_u24 v14, 0x104, v14, v19
	s_delay_alu instid0(VALU_DEP_2)
	v_cmpx_lt_i32_e64 v16, v18
	s_cbranch_execz .LBB18_8
; %bb.5:
	v_dual_lshlrev_b32 v17, 1, v12 :: v_dual_lshlrev_b32 v19, 1, v15
	s_delay_alu instid0(VALU_DEP_1)
	v_add3_u32 v17, v3, v17, v19
.LBB18_6:                               ; =>This Inner Loop Header: Depth=1
	v_sub_nc_u32_e32 v19, v18, v16
	s_delay_alu instid0(VALU_DEP_1) | instskip(NEXT) | instid1(VALU_DEP_1)
	v_lshrrev_b32_e32 v19, 1, v19
	v_add_nc_u32_e32 v19, v19, v16
	s_delay_alu instid0(VALU_DEP_1) | instskip(SKIP_1) | instid1(VALU_DEP_2)
	v_not_b32_e32 v20, v19
	v_lshl_add_u32 v21, v19, 1, v14
	v_lshl_add_u32 v20, v20, 1, v17
	ds_load_u16 v21, v21
	ds_load_u16 v20, v20
	s_wait_dscnt 0x0
	v_cmp_lt_i16_e64 s0, v20, v21
	s_delay_alu instid0(VALU_DEP_1) | instskip(NEXT) | instid1(VALU_DEP_1)
	v_dual_add_nc_u32 v22, 1, v19 :: v_dual_cndmask_b32 v18, v18, v19, s0
	v_cndmask_b32_e64 v16, v22, v16, s0
	s_delay_alu instid0(VALU_DEP_1) | instskip(SKIP_1) | instid1(SALU_CYCLE_1)
	v_cmp_ge_i32_e64 s0, v16, v18
	s_or_b32 s2, s0, s2
	s_and_not1_b32 exec_lo, exec_lo, s2
	s_cbranch_execnz .LBB18_6
; %bb.7:
	s_or_b32 exec_lo, exec_lo, s2
.LBB18_8:
	s_delay_alu instid0(SALU_CYCLE_1) | instskip(SKIP_2) | instid1(VALU_DEP_2)
	s_or_b32 exec_lo, exec_lo, s1
	v_add_nc_u32_e32 v15, v12, v15
	v_lshl_add_u32 v14, v16, 1, v14
	v_dual_add_nc_u32 v13, v16, v13 :: v_dual_sub_nc_u32 v15, v15, v16
	s_delay_alu instid0(VALU_DEP_1) | instskip(NEXT) | instid1(VALU_DEP_2)
	v_cmp_le_i32_e64 s0, v12, v13
	v_lshl_add_u32 v17, v15, 1, v3
	v_cmp_gt_i32_e64 s2, v9, v15
	ds_load_u16 v18, v14
	ds_load_u16 v17, v17
	v_and_b32_e32 v14, 28, v10
	; wave barrier
	s_wait_dscnt 0x0
	v_cmp_lt_i16_e64 s1, v17, v18
	s_or_b32 s0, s0, s1
	s_mov_b32 s1, exec_lo
	s_and_b32 s0, s2, s0
	s_delay_alu instid0(SALU_CYCLE_1) | instskip(SKIP_2) | instid1(VALU_DEP_2)
	v_dual_cndmask_b32 v19, v18, v17, s0 :: v_dual_min_i32 v14, v8, v14
	v_dual_add_nc_u32 v9, v7, v2 :: v_dual_cndmask_b32 v13, v13, v15, s0
	s_mov_b32 s2, 0
	v_add_min_i32_e64 v12, v14, 2, v8
	ds_store_b32 v9, v11
	v_lshl_add_u32 v13, v13, 2, v3
	v_add_min_i32_e64 v11, v12, 2, v8
	v_and_b32_e32 v15, 3, v10
	; wave barrier
	ds_load_b32 v13, v13
	v_dual_sub_nc_u32 v16, v11, v12 :: v_dual_min_i32 v15, v8, v15
	; wave barrier
	ds_store_b16 v7, v19
	v_sub_nc_u32_e32 v18, v12, v14
	v_sub_nc_u32_e32 v17, v15, v16
	v_cmp_ge_i32_e64 s0, v15, v16
	; wave barrier
	s_delay_alu instid0(VALU_DEP_1) | instskip(SKIP_1) | instid1(VALU_DEP_2)
	v_dual_cndmask_b32 v16, 0, v17, s0 :: v_dual_min_i32 v18, v15, v18
	v_lshl_add_u32 v17, v14, 1, v3
	v_cmpx_lt_i32_e64 v16, v18
	s_cbranch_execz .LBB18_12
; %bb.9:
	v_dual_lshlrev_b32 v19, 1, v12 :: v_dual_lshlrev_b32 v20, 1, v15
	s_delay_alu instid0(VALU_DEP_1)
	v_add3_u32 v19, v3, v19, v20
.LBB18_10:                              ; =>This Inner Loop Header: Depth=1
	v_sub_nc_u32_e32 v20, v18, v16
	s_delay_alu instid0(VALU_DEP_1) | instskip(NEXT) | instid1(VALU_DEP_1)
	v_lshrrev_b32_e32 v20, 1, v20
	v_add_nc_u32_e32 v20, v20, v16
	s_delay_alu instid0(VALU_DEP_1) | instskip(SKIP_1) | instid1(VALU_DEP_2)
	v_not_b32_e32 v21, v20
	v_lshl_add_u32 v22, v20, 1, v17
	v_lshl_add_u32 v21, v21, 1, v19
	ds_load_u16 v22, v22
	ds_load_u16 v21, v21
	s_wait_dscnt 0x0
	v_cmp_lt_i16_e64 s0, v21, v22
	s_delay_alu instid0(VALU_DEP_1) | instskip(NEXT) | instid1(VALU_DEP_1)
	v_dual_add_nc_u32 v23, 1, v20 :: v_dual_cndmask_b32 v18, v18, v20, s0
	v_cndmask_b32_e64 v16, v23, v16, s0
	s_delay_alu instid0(VALU_DEP_1) | instskip(SKIP_1) | instid1(SALU_CYCLE_1)
	v_cmp_ge_i32_e64 s0, v16, v18
	s_or_b32 s2, s0, s2
	s_and_not1_b32 exec_lo, exec_lo, s2
	s_cbranch_execnz .LBB18_10
; %bb.11:
	s_or_b32 exec_lo, exec_lo, s2
.LBB18_12:
	s_delay_alu instid0(SALU_CYCLE_1) | instskip(SKIP_2) | instid1(VALU_DEP_2)
	s_or_b32 exec_lo, exec_lo, s1
	v_add_nc_u32_e32 v15, v12, v15
	v_lshl_add_u32 v17, v16, 1, v17
	v_dual_sub_nc_u32 v15, v15, v16 :: v_dual_add_nc_u32 v16, v16, v14
	v_and_b32_e32 v14, 24, v10
	s_delay_alu instid0(VALU_DEP_2) | instskip(NEXT) | instid1(VALU_DEP_3)
	v_lshl_add_u32 v18, v15, 1, v3
	v_cmp_le_i32_e64 s0, v12, v16
	v_cmp_gt_i32_e64 s2, v11, v15
	s_delay_alu instid0(VALU_DEP_4)
	v_min_i32_e32 v14, v8, v14
	ds_load_u16 v17, v17
	ds_load_u16 v18, v18
	; wave barrier
	s_wait_dscnt 0x3
	ds_store_b32 v9, v13
	v_add_min_i32_e64 v11, v14, 4, v8
	; wave barrier
	s_delay_alu instid0(VALU_DEP_1)
	v_add_min_i32_e64 v13, v11, 4, v8
	s_wait_dscnt 0x1
	v_cmp_lt_i16_e64 s1, v18, v17
	s_or_b32 s0, s0, s1
	s_mov_b32 s1, exec_lo
	s_and_b32 s0, s2, s0
	s_mov_b32 s2, 0
	v_dual_cndmask_b32 v19, v17, v18, s0 :: v_dual_cndmask_b32 v12, v16, v15, s0
	v_dual_sub_nc_u32 v16, v13, v11 :: v_dual_bitop2_b32 v15, 7, v10 bitop3:0x40
	v_sub_nc_u32_e32 v18, v11, v14
	s_delay_alu instid0(VALU_DEP_3) | instskip(NEXT) | instid1(VALU_DEP_3)
	v_lshl_add_u32 v12, v12, 2, v3
	v_min_i32_e32 v15, v8, v15
	ds_load_b32 v12, v12
	v_dual_sub_nc_u32 v17, v15, v16 :: v_dual_min_i32 v18, v15, v18
	v_cmp_ge_i32_e64 s0, v15, v16
	; wave barrier
	ds_store_b16 v7, v19
	v_cndmask_b32_e64 v16, 0, v17, s0
	v_lshl_add_u32 v17, v14, 1, v3
	; wave barrier
	s_delay_alu instid0(VALU_DEP_2)
	v_cmpx_lt_i32_e64 v16, v18
	s_cbranch_execz .LBB18_16
; %bb.13:
	v_lshlrev_b32_e32 v19, 1, v11
	v_lshlrev_b32_e32 v20, 1, v15
	s_delay_alu instid0(VALU_DEP_1)
	v_add3_u32 v19, v3, v19, v20
.LBB18_14:                              ; =>This Inner Loop Header: Depth=1
	v_sub_nc_u32_e32 v20, v18, v16
	s_delay_alu instid0(VALU_DEP_1) | instskip(NEXT) | instid1(VALU_DEP_1)
	v_lshrrev_b32_e32 v20, 1, v20
	v_add_nc_u32_e32 v20, v20, v16
	s_delay_alu instid0(VALU_DEP_1) | instskip(SKIP_1) | instid1(VALU_DEP_2)
	v_not_b32_e32 v21, v20
	v_lshl_add_u32 v22, v20, 1, v17
	v_lshl_add_u32 v21, v21, 1, v19
	ds_load_u16 v22, v22
	ds_load_u16 v21, v21
	s_wait_dscnt 0x0
	v_cmp_lt_i16_e64 s0, v21, v22
	s_delay_alu instid0(VALU_DEP_1) | instskip(NEXT) | instid1(VALU_DEP_1)
	v_dual_add_nc_u32 v23, 1, v20 :: v_dual_cndmask_b32 v18, v18, v20, s0
	v_cndmask_b32_e64 v16, v23, v16, s0
	s_delay_alu instid0(VALU_DEP_1) | instskip(SKIP_1) | instid1(SALU_CYCLE_1)
	v_cmp_ge_i32_e64 s0, v16, v18
	s_or_b32 s2, s0, s2
	s_and_not1_b32 exec_lo, exec_lo, s2
	s_cbranch_execnz .LBB18_14
; %bb.15:
	s_or_b32 exec_lo, exec_lo, s2
.LBB18_16:
	s_delay_alu instid0(SALU_CYCLE_1) | instskip(SKIP_2) | instid1(VALU_DEP_2)
	s_or_b32 exec_lo, exec_lo, s1
	v_add_nc_u32_e32 v15, v11, v15
	v_lshl_add_u32 v17, v16, 1, v17
	v_dual_sub_nc_u32 v15, v15, v16 :: v_dual_add_nc_u32 v16, v16, v14
	v_and_b32_e32 v14, 16, v10
	s_delay_alu instid0(VALU_DEP_2) | instskip(NEXT) | instid1(VALU_DEP_3)
	v_lshl_add_u32 v18, v15, 1, v3
	v_cmp_le_i32_e64 s0, v11, v16
	s_delay_alu instid0(VALU_DEP_3)
	v_min_i32_e32 v11, v8, v14
	v_cmp_gt_i32_e64 s2, v13, v15
	ds_load_u16 v17, v17
	ds_load_u16 v18, v18
	; wave barrier
	v_add_min_i32_e64 v14, v11, 8, v8
	s_wait_dscnt 0x3
	ds_store_b32 v9, v12
	; wave barrier
	v_add_min_i32_e64 v13, v14, 8, v8
	s_wait_dscnt 0x1
	v_cmp_lt_i16_e64 s1, v18, v17
	s_or_b32 s0, s0, s1
	s_mov_b32 s1, exec_lo
	s_and_b32 s0, s2, s0
	s_mov_b32 s2, 0
	v_dual_cndmask_b32 v19, v17, v18, s0 :: v_dual_cndmask_b32 v15, v16, v15, s0
	v_sub_nc_u32_e32 v17, v13, v14
	v_dual_sub_nc_u32 v18, v14, v11 :: v_dual_bitop2_b32 v12, 15, v10 bitop3:0x40
	s_delay_alu instid0(VALU_DEP_3) | instskip(NEXT) | instid1(VALU_DEP_2)
	v_lshl_add_u32 v16, v15, 2, v3
	v_min_i32_e32 v15, v8, v12
	ds_load_b32 v12, v16
	v_sub_nc_u32_e32 v16, v15, v17
	v_cmp_ge_i32_e64 s0, v15, v17
	v_min_i32_e32 v18, v15, v18
	v_lshl_add_u32 v17, v11, 1, v3
	; wave barrier
	ds_store_b16 v7, v19
	v_cndmask_b32_e64 v16, 0, v16, s0
	; wave barrier
	s_delay_alu instid0(VALU_DEP_1)
	v_cmpx_lt_i32_e64 v16, v18
	s_cbranch_execz .LBB18_20
; %bb.17:
	v_dual_lshlrev_b32 v19, 1, v14 :: v_dual_lshlrev_b32 v20, 1, v15
	s_delay_alu instid0(VALU_DEP_1)
	v_add3_u32 v19, v3, v19, v20
.LBB18_18:                              ; =>This Inner Loop Header: Depth=1
	v_sub_nc_u32_e32 v20, v18, v16
	s_delay_alu instid0(VALU_DEP_1) | instskip(NEXT) | instid1(VALU_DEP_1)
	v_lshrrev_b32_e32 v20, 1, v20
	v_add_nc_u32_e32 v20, v20, v16
	s_delay_alu instid0(VALU_DEP_1) | instskip(SKIP_1) | instid1(VALU_DEP_2)
	v_not_b32_e32 v21, v20
	v_lshl_add_u32 v22, v20, 1, v17
	v_lshl_add_u32 v21, v21, 1, v19
	ds_load_u16 v22, v22
	ds_load_u16 v21, v21
	s_wait_dscnt 0x0
	v_cmp_lt_i16_e64 s0, v21, v22
	s_delay_alu instid0(VALU_DEP_1) | instskip(NEXT) | instid1(VALU_DEP_1)
	v_dual_add_nc_u32 v23, 1, v20 :: v_dual_cndmask_b32 v18, v18, v20, s0
	v_cndmask_b32_e64 v16, v23, v16, s0
	s_delay_alu instid0(VALU_DEP_1) | instskip(SKIP_1) | instid1(SALU_CYCLE_1)
	v_cmp_ge_i32_e64 s0, v16, v18
	s_or_b32 s2, s0, s2
	s_and_not1_b32 exec_lo, exec_lo, s2
	s_cbranch_execnz .LBB18_18
; %bb.19:
	s_or_b32 exec_lo, exec_lo, s2
.LBB18_20:
	s_delay_alu instid0(SALU_CYCLE_1) | instskip(SKIP_1) | instid1(VALU_DEP_1)
	s_or_b32 exec_lo, exec_lo, s1
	v_add_nc_u32_e32 v15, v14, v15
	v_sub_nc_u32_e32 v18, v15, v16
	v_lshl_add_u32 v15, v16, 1, v17
	v_dual_add_nc_u32 v16, v16, v11 :: v_dual_min_i32 v11, 0, v8
	s_delay_alu instid0(VALU_DEP_3) | instskip(SKIP_1) | instid1(VALU_DEP_3)
	v_lshl_add_u32 v17, v18, 1, v3
	v_cmp_gt_i32_e64 s2, v13, v18
	v_cmp_le_i32_e64 s0, v14, v16
	ds_load_u16 v19, v15
	ds_load_u16 v17, v17
	v_add_min_i32_e64 v15, v11, 16, v8
	; wave barrier
	s_wait_dscnt 0x3
	ds_store_b32 v9, v12
	; wave barrier
	v_min_i32_e32 v10, v8, v10
	s_wait_dscnt 0x1
	v_cmp_lt_i16_e64 s1, v17, v19
	s_or_b32 s0, s0, s1
	s_mov_b32 s1, exec_lo
	s_and_b32 s0, s2, s0
	s_mov_b32 s2, 0
	v_dual_cndmask_b32 v19, v19, v17, s0 :: v_dual_cndmask_b32 v13, v16, v18, s0
	v_add_min_i32_e64 v16, v15, 16, v8
	v_sub_nc_u32_e32 v18, v15, v11
	s_delay_alu instid0(VALU_DEP_3) | instskip(NEXT) | instid1(VALU_DEP_2)
	v_lshl_add_u32 v12, v13, 2, v3
	v_dual_sub_nc_u32 v13, v16, v15 :: v_dual_min_i32 v18, v10, v18
	ds_load_b32 v14, v12
	v_sub_nc_u32_e32 v12, v10, v13
	v_cmp_ge_i32_e64 s0, v10, v13
	v_lshlrev_b32_e32 v13, 1, v10
	; wave barrier
	ds_store_b16 v7, v19
	v_cndmask_b32_e64 v17, 0, v12, s0
	v_lshl_add_u32 v12, v11, 1, v3
	; wave barrier
	s_delay_alu instid0(VALU_DEP_2)
	v_cmpx_lt_i32_e64 v17, v18
	s_cbranch_execz .LBB18_24
; %bb.21:
	v_lshlrev_b32_e32 v19, 1, v15
	s_delay_alu instid0(VALU_DEP_1)
	v_add3_u32 v19, v3, v19, v13
.LBB18_22:                              ; =>This Inner Loop Header: Depth=1
	v_sub_nc_u32_e32 v20, v18, v17
	s_delay_alu instid0(VALU_DEP_1) | instskip(NEXT) | instid1(VALU_DEP_1)
	v_lshrrev_b32_e32 v20, 1, v20
	v_add_nc_u32_e32 v20, v20, v17
	s_delay_alu instid0(VALU_DEP_1) | instskip(SKIP_1) | instid1(VALU_DEP_2)
	v_not_b32_e32 v21, v20
	v_lshl_add_u32 v22, v20, 1, v12
	v_lshl_add_u32 v21, v21, 1, v19
	ds_load_u16 v22, v22
	ds_load_u16 v21, v21
	s_wait_dscnt 0x0
	v_cmp_lt_i16_e64 s0, v21, v22
	s_delay_alu instid0(VALU_DEP_1) | instskip(NEXT) | instid1(VALU_DEP_1)
	v_dual_add_nc_u32 v23, 1, v20 :: v_dual_cndmask_b32 v18, v18, v20, s0
	v_cndmask_b32_e64 v17, v23, v17, s0
	s_delay_alu instid0(VALU_DEP_1) | instskip(SKIP_1) | instid1(SALU_CYCLE_1)
	v_cmp_ge_i32_e64 s0, v17, v18
	s_or_b32 s2, s0, s2
	s_and_not1_b32 exec_lo, exec_lo, s2
	s_cbranch_execnz .LBB18_22
; %bb.23:
	s_or_b32 exec_lo, exec_lo, s2
.LBB18_24:
	s_delay_alu instid0(SALU_CYCLE_1) | instskip(SKIP_2) | instid1(VALU_DEP_2)
	s_or_b32 exec_lo, exec_lo, s1
	v_add_nc_u32_e32 v18, v15, v10
	v_lshl_add_u32 v19, v17, 1, v12
	v_dual_sub_nc_u32 v18, v18, v17 :: v_dual_add_nc_u32 v17, v17, v11
	s_delay_alu instid0(VALU_DEP_1) | instskip(NEXT) | instid1(VALU_DEP_2)
	v_lshl_add_u32 v20, v18, 1, v3
	v_cmp_le_i32_e64 s0, v15, v17
	v_cmp_gt_i32_e64 s2, v16, v18
	v_add_min_i32_e64 v15, v11, 32, v8
	ds_load_u16 v19, v19
	ds_load_u16 v20, v20
	; wave barrier
	s_wait_dscnt 0x3
	ds_store_b32 v9, v14
	v_add_min_i32_e64 v8, v15, 32, v8
	; wave barrier
	s_delay_alu instid0(VALU_DEP_1)
	v_sub_nc_u32_e32 v14, v8, v15
	s_wait_dscnt 0x1
	v_cmp_lt_i16_e64 s1, v20, v19
	s_or_b32 s0, s0, s1
	s_mov_b32 s1, exec_lo
	s_and_b32 s0, s2, s0
	s_mov_b32 s2, 0
	v_dual_cndmask_b32 v19, v19, v20, s0 :: v_dual_cndmask_b32 v16, v17, v18, s0
	v_dual_sub_nc_u32 v17, v10, v14 :: v_dual_sub_nc_u32 v18, v15, v11
	v_cmp_ge_i32_e64 s0, v10, v14
	s_delay_alu instid0(VALU_DEP_3) | instskip(NEXT) | instid1(VALU_DEP_2)
	v_lshl_add_u32 v16, v16, 2, v3
	v_dual_cndmask_b32 v14, 0, v17, s0 :: v_dual_min_i32 v17, v10, v18
	ds_load_b32 v16, v16
	; wave barrier
	ds_store_b16 v7, v19
	; wave barrier
	v_cmpx_lt_i32_e64 v14, v17
	s_cbranch_execz .LBB18_28
; %bb.25:
	v_lshlrev_b32_e32 v7, 1, v15
	s_delay_alu instid0(VALU_DEP_1)
	v_add3_u32 v7, v3, v7, v13
.LBB18_26:                              ; =>This Inner Loop Header: Depth=1
	v_sub_nc_u32_e32 v13, v17, v14
	s_delay_alu instid0(VALU_DEP_1) | instskip(NEXT) | instid1(VALU_DEP_1)
	v_lshrrev_b32_e32 v13, 1, v13
	v_add_nc_u32_e32 v13, v13, v14
	s_delay_alu instid0(VALU_DEP_1) | instskip(SKIP_1) | instid1(VALU_DEP_2)
	v_not_b32_e32 v18, v13
	v_lshl_add_u32 v19, v13, 1, v12
	v_lshl_add_u32 v18, v18, 1, v7
	ds_load_u16 v19, v19
	ds_load_u16 v18, v18
	s_wait_dscnt 0x0
	v_cmp_lt_i16_e64 s0, v18, v19
	s_delay_alu instid0(VALU_DEP_1) | instskip(NEXT) | instid1(VALU_DEP_1)
	v_dual_add_nc_u32 v20, 1, v13 :: v_dual_cndmask_b32 v17, v17, v13, s0
	v_cndmask_b32_e64 v14, v20, v14, s0
	s_delay_alu instid0(VALU_DEP_1) | instskip(SKIP_1) | instid1(SALU_CYCLE_1)
	v_cmp_ge_i32_e64 s0, v14, v17
	s_or_b32 s2, s0, s2
	s_and_not1_b32 exec_lo, exec_lo, s2
	s_cbranch_execnz .LBB18_26
; %bb.27:
	s_or_b32 exec_lo, exec_lo, s2
.LBB18_28:
	s_delay_alu instid0(SALU_CYCLE_1) | instskip(SKIP_2) | instid1(VALU_DEP_2)
	s_or_b32 exec_lo, exec_lo, s1
	v_add_nc_u32_e32 v7, v15, v10
	v_lshl_add_u32 v10, v14, 1, v12
	v_sub_nc_u32_e32 v7, v7, v14
	s_delay_alu instid0(VALU_DEP_1)
	v_lshl_add_u32 v12, v7, 1, v3
	ds_load_u16 v10, v10
	ds_load_u16 v12, v12
	; wave barrier
	s_wait_dscnt 0x3
	ds_store_b32 v9, v16
	; wave barrier
	s_and_saveexec_b32 s0, vcc_lo
	s_cbranch_execz .LBB18_30
; %bb.29:
	v_add_nc_u32_e32 v9, v14, v11
	s_wait_dscnt 0x1
	v_cmp_lt_i16_e32 vcc_lo, v12, v10
	v_cmp_gt_i32_e64 s1, v8, v7
	s_delay_alu instid0(VALU_DEP_3) | instskip(SKIP_1) | instid1(SALU_CYCLE_1)
	v_cmp_le_i32_e64 s0, v15, v9
	s_or_b32 s0, s0, vcc_lo
	s_and_b32 vcc_lo, s1, s0
	v_cndmask_b32_e32 v7, v9, v7, vcc_lo
	s_delay_alu instid0(VALU_DEP_1) | instskip(SKIP_2) | instid1(VALU_DEP_1)
	v_lshl_add_u32 v3, v7, 2, v3
	ds_load_b32 v8, v3
	v_mov_b32_e32 v3, 0
	v_mov_b32_e32 v7, v3
	v_add_nc_u64_e32 v[0:1], v[0:1], v[2:3]
	s_delay_alu instid0(VALU_DEP_2)
	v_add_nc_u64_e32 v[2:3], v[4:5], v[6:7]
	v_cndmask_b32_e32 v4, v10, v12, vcc_lo
	global_store_b16 v[0:1], v4, off
	s_wait_dscnt 0x0
	global_store_b32 v[2:3], v8, off
.LBB18_30:
	s_endpgm
	.section	.rodata,"a",@progbits
	.p2align	6, 0x0
	.amdhsa_kernel _Z26sort_keys_values_segmentedILj512ELj64ELj1ELb0EsiN10test_utils4lessEEvPT3_PT4_PKjT5_
		.amdhsa_group_segment_fixed_size 2080
		.amdhsa_private_segment_fixed_size 0
		.amdhsa_kernarg_size 28
		.amdhsa_user_sgpr_count 2
		.amdhsa_user_sgpr_dispatch_ptr 0
		.amdhsa_user_sgpr_queue_ptr 0
		.amdhsa_user_sgpr_kernarg_segment_ptr 1
		.amdhsa_user_sgpr_dispatch_id 0
		.amdhsa_user_sgpr_kernarg_preload_length 0
		.amdhsa_user_sgpr_kernarg_preload_offset 0
		.amdhsa_user_sgpr_private_segment_size 0
		.amdhsa_wavefront_size32 1
		.amdhsa_uses_dynamic_stack 0
		.amdhsa_enable_private_segment 0
		.amdhsa_system_sgpr_workgroup_id_x 1
		.amdhsa_system_sgpr_workgroup_id_y 0
		.amdhsa_system_sgpr_workgroup_id_z 0
		.amdhsa_system_sgpr_workgroup_info 0
		.amdhsa_system_vgpr_workitem_id 0
		.amdhsa_next_free_vgpr 24
		.amdhsa_next_free_sgpr 7
		.amdhsa_named_barrier_count 0
		.amdhsa_reserve_vcc 1
		.amdhsa_float_round_mode_32 0
		.amdhsa_float_round_mode_16_64 0
		.amdhsa_float_denorm_mode_32 3
		.amdhsa_float_denorm_mode_16_64 3
		.amdhsa_fp16_overflow 0
		.amdhsa_memory_ordered 1
		.amdhsa_forward_progress 1
		.amdhsa_inst_pref_size 21
		.amdhsa_round_robin_scheduling 0
		.amdhsa_exception_fp_ieee_invalid_op 0
		.amdhsa_exception_fp_denorm_src 0
		.amdhsa_exception_fp_ieee_div_zero 0
		.amdhsa_exception_fp_ieee_overflow 0
		.amdhsa_exception_fp_ieee_underflow 0
		.amdhsa_exception_fp_ieee_inexact 0
		.amdhsa_exception_int_div_zero 0
	.end_amdhsa_kernel
	.section	.text._Z26sort_keys_values_segmentedILj512ELj64ELj1ELb0EsiN10test_utils4lessEEvPT3_PT4_PKjT5_,"axG",@progbits,_Z26sort_keys_values_segmentedILj512ELj64ELj1ELb0EsiN10test_utils4lessEEvPT3_PT4_PKjT5_,comdat
.Lfunc_end18:
	.size	_Z26sort_keys_values_segmentedILj512ELj64ELj1ELb0EsiN10test_utils4lessEEvPT3_PT4_PKjT5_, .Lfunc_end18-_Z26sort_keys_values_segmentedILj512ELj64ELj1ELb0EsiN10test_utils4lessEEvPT3_PT4_PKjT5_
                                        ; -- End function
	.set _Z26sort_keys_values_segmentedILj512ELj64ELj1ELb0EsiN10test_utils4lessEEvPT3_PT4_PKjT5_.num_vgpr, 24
	.set _Z26sort_keys_values_segmentedILj512ELj64ELj1ELb0EsiN10test_utils4lessEEvPT3_PT4_PKjT5_.num_agpr, 0
	.set _Z26sort_keys_values_segmentedILj512ELj64ELj1ELb0EsiN10test_utils4lessEEvPT3_PT4_PKjT5_.numbered_sgpr, 7
	.set _Z26sort_keys_values_segmentedILj512ELj64ELj1ELb0EsiN10test_utils4lessEEvPT3_PT4_PKjT5_.num_named_barrier, 0
	.set _Z26sort_keys_values_segmentedILj512ELj64ELj1ELb0EsiN10test_utils4lessEEvPT3_PT4_PKjT5_.private_seg_size, 0
	.set _Z26sort_keys_values_segmentedILj512ELj64ELj1ELb0EsiN10test_utils4lessEEvPT3_PT4_PKjT5_.uses_vcc, 1
	.set _Z26sort_keys_values_segmentedILj512ELj64ELj1ELb0EsiN10test_utils4lessEEvPT3_PT4_PKjT5_.uses_flat_scratch, 0
	.set _Z26sort_keys_values_segmentedILj512ELj64ELj1ELb0EsiN10test_utils4lessEEvPT3_PT4_PKjT5_.has_dyn_sized_stack, 0
	.set _Z26sort_keys_values_segmentedILj512ELj64ELj1ELb0EsiN10test_utils4lessEEvPT3_PT4_PKjT5_.has_recursion, 0
	.set _Z26sort_keys_values_segmentedILj512ELj64ELj1ELb0EsiN10test_utils4lessEEvPT3_PT4_PKjT5_.has_indirect_call, 0
	.section	.AMDGPU.csdata,"",@progbits
; Kernel info:
; codeLenInByte = 2648
; TotalNumSgprs: 9
; NumVgprs: 24
; ScratchSize: 0
; MemoryBound: 0
; FloatMode: 240
; IeeeMode: 1
; LDSByteSize: 2080 bytes/workgroup (compile time only)
; SGPRBlocks: 0
; VGPRBlocks: 1
; NumSGPRsForWavesPerEU: 9
; NumVGPRsForWavesPerEU: 24
; NamedBarCnt: 0
; Occupancy: 16
; WaveLimiterHint : 0
; COMPUTE_PGM_RSRC2:SCRATCH_EN: 0
; COMPUTE_PGM_RSRC2:USER_SGPR: 2
; COMPUTE_PGM_RSRC2:TRAP_HANDLER: 0
; COMPUTE_PGM_RSRC2:TGID_X_EN: 1
; COMPUTE_PGM_RSRC2:TGID_Y_EN: 0
; COMPUTE_PGM_RSRC2:TGID_Z_EN: 0
; COMPUTE_PGM_RSRC2:TIDIG_COMP_CNT: 0
	.section	.text._Z26sort_keys_values_segmentedILj32ELj32ELj1ELb0EdiN10test_utils4lessEEvPT3_PT4_PKjT5_,"axG",@progbits,_Z26sort_keys_values_segmentedILj32ELj32ELj1ELb0EdiN10test_utils4lessEEvPT3_PT4_PKjT5_,comdat
	.protected	_Z26sort_keys_values_segmentedILj32ELj32ELj1ELb0EdiN10test_utils4lessEEvPT3_PT4_PKjT5_ ; -- Begin function _Z26sort_keys_values_segmentedILj32ELj32ELj1ELb0EdiN10test_utils4lessEEvPT3_PT4_PKjT5_
	.globl	_Z26sort_keys_values_segmentedILj32ELj32ELj1ELb0EdiN10test_utils4lessEEvPT3_PT4_PKjT5_
	.p2align	8
	.type	_Z26sort_keys_values_segmentedILj32ELj32ELj1ELb0EdiN10test_utils4lessEEvPT3_PT4_PKjT5_,@function
_Z26sort_keys_values_segmentedILj32ELj32ELj1ELb0EdiN10test_utils4lessEEvPT3_PT4_PKjT5_: ; @_Z26sort_keys_values_segmentedILj32ELj32ELj1ELb0EdiN10test_utils4lessEEvPT3_PT4_PKjT5_
; %bb.0:
	s_load_b64 s[2:3], s[0:1], 0x10
	s_bfe_u32 s4, ttmp6, 0x4000c
	s_and_b32 s5, ttmp6, 15
	s_add_co_i32 s4, s4, 1
	s_getreg_b32 s6, hwreg(HW_REG_IB_STS2, 6, 4)
	s_mul_i32 s4, ttmp9, s4
	v_mbcnt_lo_u32_b32 v9, -1, 0
	s_add_co_i32 s5, s5, s4
	s_cmp_eq_u32 s6, 0
	s_mov_b32 s7, 0
	s_cselect_b32 s4, ttmp9, s5
	s_delay_alu instid0(SALU_CYCLE_1) | instskip(SKIP_1) | instid1(SALU_CYCLE_1)
	v_dual_mov_b32 v1, 0 :: v_dual_mov_b32 v0, s4
	s_lshl_b32 s6, s4, 5
                                        ; implicit-def: $vgpr6_vgpr7
	s_lshl_b64 s[4:5], s[6:7], 3
	s_wait_kmcnt 0x0
	global_load_b32 v8, v0, s[2:3] scale_offset
	s_wait_xcnt 0x0
	s_load_b128 s[0:3], s[0:1], 0x0
	v_lshlrev_b32_e32 v0, 3, v9
	s_wait_kmcnt 0x0
	s_add_nc_u64 s[4:5], s[0:1], s[4:5]
	s_wait_loadcnt 0x0
	v_cmp_lt_u32_e32 vcc_lo, v9, v8
	s_and_saveexec_b32 s0, vcc_lo
	s_cbranch_execz .LBB19_2
; %bb.1:
	v_add_nc_u64_e32 v[2:3], s[4:5], v[0:1]
	global_load_b64 v[6:7], v[2:3], off
.LBB19_2:
	s_wait_xcnt 0x0
	s_or_b32 exec_lo, exec_lo, s0
	v_lshl_add_u64 v[2:3], s[6:7], 2, s[2:3]
	v_lshlrev_b32_e32 v4, 2, v9
                                        ; implicit-def: $vgpr1
	s_and_saveexec_b32 s0, vcc_lo
	s_cbranch_execz .LBB19_4
; %bb.3:
	v_mov_b32_e32 v5, 0
	s_delay_alu instid0(VALU_DEP_1)
	v_add_nc_u64_e32 v[10:11], v[2:3], v[4:5]
	global_load_b32 v1, v[10:11], off
.LBB19_4:
	s_wait_xcnt 0x0
	s_or_b32 exec_lo, exec_lo, s0
	v_and_b32_e32 v12, 1, v9
	s_mov_b32 s1, exec_lo
	; wave barrier
	s_wait_loadcnt 0x0
	ds_store_b64 v0, v[6:7]
	v_min_i32_e32 v13, v8, v12
	v_and_b32_e32 v5, 30, v9
	; wave barrier
	s_delay_alu instid0(VALU_DEP_1) | instskip(NEXT) | instid1(VALU_DEP_1)
	v_min_i32_e32 v11, v8, v5
	v_add_min_i32_e64 v10, v11, 1, v8
	s_delay_alu instid0(VALU_DEP_1) | instskip(NEXT) | instid1(VALU_DEP_1)
	v_add_min_i32_e64 v5, v10, 1, v8
	v_dual_sub_nc_u32 v12, v5, v10 :: v_dual_sub_nc_u32 v15, v10, v11
	s_delay_alu instid0(VALU_DEP_1) | instskip(SKIP_1) | instid1(VALU_DEP_1)
	v_sub_nc_u32_e32 v14, v13, v12
	v_cmp_ge_i32_e64 s0, v13, v12
	v_dual_cndmask_b32 v12, 0, v14, s0 :: v_dual_min_i32 v15, v13, v15
	v_lshlrev_b32_e32 v14, 3, v11
	s_delay_alu instid0(VALU_DEP_2)
	v_cmpx_lt_i32_e64 v12, v15
	s_cbranch_execz .LBB19_8
; %bb.5:
	v_lshlrev_b32_e32 v6, 3, v13
	s_mov_b32 s2, 0
	s_delay_alu instid0(VALU_DEP_1)
	v_lshl_add_u32 v6, v10, 3, v6
.LBB19_6:                               ; =>This Inner Loop Header: Depth=1
	v_sub_nc_u32_e32 v7, v15, v12
	s_delay_alu instid0(VALU_DEP_1) | instskip(NEXT) | instid1(VALU_DEP_1)
	v_lshrrev_b32_e32 v7, 1, v7
	v_add_nc_u32_e32 v7, v7, v12
	s_delay_alu instid0(VALU_DEP_1) | instskip(SKIP_1) | instid1(VALU_DEP_2)
	v_not_b32_e32 v16, v7
	v_lshl_add_u32 v17, v7, 3, v14
	v_lshl_add_u32 v18, v16, 3, v6
	ds_load_b64 v[16:17], v17
	ds_load_b64 v[18:19], v18
	s_wait_dscnt 0x0
	v_cmp_lt_f64_e64 s0, v[18:19], v[16:17]
	s_delay_alu instid0(VALU_DEP_1) | instskip(NEXT) | instid1(VALU_DEP_1)
	v_dual_add_nc_u32 v16, 1, v7 :: v_dual_cndmask_b32 v15, v15, v7, s0
	v_cndmask_b32_e64 v12, v16, v12, s0
	s_delay_alu instid0(VALU_DEP_1) | instskip(SKIP_1) | instid1(SALU_CYCLE_1)
	v_cmp_ge_i32_e64 s0, v12, v15
	s_or_b32 s2, s0, s2
	s_and_not1_b32 exec_lo, exec_lo, s2
	s_cbranch_execnz .LBB19_6
; %bb.7:
	s_or_b32 exec_lo, exec_lo, s2
.LBB19_8:
	s_delay_alu instid0(SALU_CYCLE_1) | instskip(SKIP_2) | instid1(VALU_DEP_2)
	s_or_b32 exec_lo, exec_lo, s1
	v_dual_add_nc_u32 v6, v10, v13 :: v_dual_add_nc_u32 v11, v12, v11
	v_lshl_add_u32 v7, v12, 3, v14
	v_sub_nc_u32_e32 v6, v6, v12
	s_delay_alu instid0(VALU_DEP_3) | instskip(NEXT) | instid1(VALU_DEP_2)
	v_cmp_le_i32_e64 s1, v10, v11
	v_lshlrev_b32_e32 v13, 3, v6
	ds_load_b64 v[14:15], v7
	ds_load_b64 v[16:17], v13
	v_and_b32_e32 v7, 28, v9
	v_cmp_gt_i32_e64 s2, v5, v6
	; wave barrier
	s_delay_alu instid0(VALU_DEP_2) | instskip(NEXT) | instid1(VALU_DEP_1)
	v_min_i32_e32 v7, v8, v7
	v_add_min_i32_e64 v5, v7, 2, v8
	s_delay_alu instid0(VALU_DEP_1) | instskip(SKIP_3) | instid1(SALU_CYCLE_1)
	v_sub_nc_u32_e32 v13, v5, v7
	s_wait_dscnt 0x0
	v_cmp_lt_f64_e64 s0, v[16:17], v[14:15]
	s_or_b32 s0, s1, s0
	s_and_b32 s0, s2, s0
	s_delay_alu instid0(SALU_CYCLE_1)
	v_dual_sub_nc_u32 v10, v0, v4 :: v_dual_cndmask_b32 v15, v15, v17, s0
	v_dual_cndmask_b32 v6, v11, v6, s0 :: v_dual_cndmask_b32 v14, v14, v16, s0
	s_mov_b32 s2, exec_lo
	ds_store_b32 v10, v1
	v_and_b32_e32 v10, 3, v9
	v_add_min_i32_e64 v1, v5, 2, v8
	v_lshlrev_b32_e32 v6, 2, v6
	; wave barrier
	s_delay_alu instid0(VALU_DEP_2)
	v_dual_sub_nc_u32 v10, v1, v5 :: v_dual_min_i32 v11, v8, v10
	ds_load_b32 v6, v6
	; wave barrier
	v_dual_sub_nc_u32 v12, v11, v10 :: v_dual_min_i32 v13, v11, v13
	v_cmp_ge_i32_e64 s1, v11, v10
	ds_store_b64 v0, v[14:15]
	; wave barrier
	v_dual_cndmask_b32 v10, 0, v12, s1 :: v_dual_lshlrev_b32 v12, 3, v7
	s_mov_b32 s1, 0
	s_delay_alu instid0(VALU_DEP_1)
	v_cmpx_lt_i32_e64 v10, v13
	s_cbranch_execz .LBB19_12
; %bb.9:
	v_lshlrev_b32_e32 v14, 3, v11
	s_delay_alu instid0(VALU_DEP_1)
	v_lshl_add_u32 v14, v5, 3, v14
.LBB19_10:                              ; =>This Inner Loop Header: Depth=1
	v_sub_nc_u32_e32 v15, v13, v10
	s_delay_alu instid0(VALU_DEP_1) | instskip(NEXT) | instid1(VALU_DEP_1)
	v_lshrrev_b32_e32 v15, 1, v15
	v_add_nc_u32_e32 v15, v15, v10
	s_delay_alu instid0(VALU_DEP_1) | instskip(SKIP_1) | instid1(VALU_DEP_2)
	v_not_b32_e32 v16, v15
	v_lshl_add_u32 v17, v15, 3, v12
	v_lshl_add_u32 v18, v16, 3, v14
	ds_load_b64 v[16:17], v17
	ds_load_b64 v[18:19], v18
	s_wait_dscnt 0x0
	v_cmp_lt_f64_e64 s0, v[18:19], v[16:17]
	s_delay_alu instid0(VALU_DEP_1) | instskip(NEXT) | instid1(VALU_DEP_1)
	v_dual_add_nc_u32 v16, 1, v15 :: v_dual_cndmask_b32 v13, v13, v15, s0
	v_cndmask_b32_e64 v10, v16, v10, s0
	s_delay_alu instid0(VALU_DEP_1) | instskip(SKIP_1) | instid1(SALU_CYCLE_1)
	v_cmp_ge_i32_e64 s0, v10, v13
	s_or_b32 s1, s0, s1
	s_and_not1_b32 exec_lo, exec_lo, s1
	s_cbranch_execnz .LBB19_10
; %bb.11:
	s_or_b32 exec_lo, exec_lo, s1
.LBB19_12:
	s_delay_alu instid0(SALU_CYCLE_1) | instskip(SKIP_2) | instid1(VALU_DEP_2)
	s_or_b32 exec_lo, exec_lo, s2
	v_dual_sub_nc_u32 v13, 0, v4 :: v_dual_add_nc_u32 v11, v5, v11
	v_lshl_add_u32 v12, v10, 3, v12
	v_dual_add_nc_u32 v7, v10, v7 :: v_dual_sub_nc_u32 v11, v11, v10
	v_and_b32_e32 v10, 24, v9
	s_delay_alu instid0(VALU_DEP_2) | instskip(NEXT) | instid1(VALU_DEP_3)
	v_cmp_le_i32_e64 s1, v5, v7
	v_lshlrev_b32_e32 v14, 3, v11
	v_cmp_gt_i32_e64 s2, v1, v11
	ds_load_b64 v[16:17], v12
	ds_load_b64 v[18:19], v14
	; wave barrier
	s_wait_dscnt 0x0
	v_cmp_lt_f64_e64 s0, v[18:19], v[16:17]
	s_or_b32 s0, s1, s0
	s_delay_alu instid0(SALU_CYCLE_1) | instskip(NEXT) | instid1(SALU_CYCLE_1)
	s_and_b32 s0, s2, s0
	v_dual_cndmask_b32 v17, v17, v19, s0 :: v_dual_min_i32 v10, v8, v10
	v_dual_add_nc_u32 v1, v0, v13 :: v_dual_cndmask_b32 v11, v7, v11, s0
	v_cndmask_b32_e64 v16, v16, v18, s0
	s_delay_alu instid0(VALU_DEP_3) | instskip(SKIP_4) | instid1(VALU_DEP_2)
	v_add_min_i32_e64 v5, v10, 4, v8
	s_mov_b32 s2, 0
	ds_store_b32 v1, v6
	v_dual_lshlrev_b32 v11, 2, v11 :: v_dual_bitop2_b32 v6, 7, v9 bitop3:0x40
	v_add_min_i32_e64 v7, v5, 4, v8
	; wave barrier
	v_min_i32_e32 v12, v8, v6
	ds_load_b32 v6, v11
	v_sub_nc_u32_e32 v13, v7, v5
	; wave barrier
	v_sub_nc_u32_e32 v14, v5, v10
	ds_store_b64 v0, v[16:17]
	v_sub_nc_u32_e32 v11, v12, v13
	v_cmp_ge_i32_e64 s1, v12, v13
	v_lshlrev_b32_e32 v13, 3, v10
	v_min_i32_e32 v14, v12, v14
	; wave barrier
	s_delay_alu instid0(VALU_DEP_3) | instskip(SKIP_1) | instid1(VALU_DEP_1)
	v_cndmask_b32_e64 v11, 0, v11, s1
	s_mov_b32 s1, exec_lo
	v_cmpx_lt_i32_e64 v11, v14
	s_cbranch_execz .LBB19_16
; %bb.13:
	v_lshlrev_b32_e32 v15, 3, v12
	s_delay_alu instid0(VALU_DEP_1)
	v_lshl_add_u32 v15, v5, 3, v15
.LBB19_14:                              ; =>This Inner Loop Header: Depth=1
	v_sub_nc_u32_e32 v16, v14, v11
	s_delay_alu instid0(VALU_DEP_1) | instskip(NEXT) | instid1(VALU_DEP_1)
	v_lshrrev_b32_e32 v16, 1, v16
	v_add_nc_u32_e32 v20, v16, v11
	s_delay_alu instid0(VALU_DEP_1) | instskip(SKIP_1) | instid1(VALU_DEP_2)
	v_not_b32_e32 v16, v20
	v_lshl_add_u32 v17, v20, 3, v13
	v_lshl_add_u32 v18, v16, 3, v15
	ds_load_b64 v[16:17], v17
	ds_load_b64 v[18:19], v18
	s_wait_dscnt 0x0
	v_cmp_lt_f64_e64 s0, v[18:19], v[16:17]
	v_add_nc_u32_e32 v16, 1, v20
	s_delay_alu instid0(VALU_DEP_1) | instskip(NEXT) | instid1(VALU_DEP_1)
	v_dual_cndmask_b32 v11, v16, v11, s0 :: v_dual_cndmask_b32 v14, v14, v20, s0
	v_cmp_ge_i32_e64 s0, v11, v14
	s_or_b32 s2, s0, s2
	s_delay_alu instid0(SALU_CYCLE_1)
	s_and_not1_b32 exec_lo, exec_lo, s2
	s_cbranch_execnz .LBB19_14
; %bb.15:
	s_or_b32 exec_lo, exec_lo, s2
.LBB19_16:
	s_delay_alu instid0(SALU_CYCLE_1) | instskip(SKIP_2) | instid1(VALU_DEP_2)
	s_or_b32 exec_lo, exec_lo, s1
	v_add_nc_u32_e32 v12, v5, v12
	v_lshl_add_u32 v13, v11, 3, v13
	v_dual_sub_nc_u32 v12, v12, v11 :: v_dual_add_nc_u32 v11, v11, v10
	s_delay_alu instid0(VALU_DEP_1) | instskip(NEXT) | instid1(VALU_DEP_2)
	v_dual_lshlrev_b32 v14, 3, v12 :: v_dual_bitop2_b32 v10, 16, v9 bitop3:0x40
	v_cmp_le_i32_e64 s1, v5, v11
	s_delay_alu instid0(VALU_DEP_2)
	v_min_i32_e32 v10, v8, v10
	v_cmp_gt_i32_e64 s2, v7, v12
	ds_load_b64 v[16:17], v13
	ds_load_b64 v[18:19], v14
	; wave barrier
	v_add_min_i32_e64 v7, v10, 8, v8
	s_wait_dscnt 0x3
	ds_store_b32 v1, v6
	; wave barrier
	v_add_min_i32_e64 v6, v7, 8, v8
	v_sub_nc_u32_e32 v14, v7, v10
	s_wait_dscnt 0x1
	v_cmp_lt_f64_e64 s0, v[18:19], v[16:17]
	s_or_b32 s0, s1, s0
	s_delay_alu instid0(SALU_CYCLE_1) | instskip(SKIP_3) | instid1(VALU_DEP_1)
	s_and_b32 s0, s2, s0
	s_mov_b32 s2, 0
	v_dual_cndmask_b32 v17, v17, v19, s0 :: v_dual_cndmask_b32 v5, v11, v12, s0
	v_dual_cndmask_b32 v16, v16, v18, s0 :: v_dual_bitop2_b32 v11, 15, v9 bitop3:0x40
	v_dual_lshlrev_b32 v5, 2, v5 :: v_dual_min_i32 v12, v8, v11
	v_sub_nc_u32_e32 v11, v6, v7
	ds_load_b32 v5, v5
	v_dual_sub_nc_u32 v13, v12, v11 :: v_dual_min_i32 v14, v12, v14
	v_cmp_ge_i32_e64 s1, v12, v11
	; wave barrier
	ds_store_b64 v0, v[16:17]
	v_dual_cndmask_b32 v11, 0, v13, s1 :: v_dual_lshlrev_b32 v13, 3, v10
	s_mov_b32 s1, exec_lo
	; wave barrier
	s_delay_alu instid0(VALU_DEP_1)
	v_cmpx_lt_i32_e64 v11, v14
	s_cbranch_execz .LBB19_20
; %bb.17:
	v_lshlrev_b32_e32 v15, 3, v12
	s_delay_alu instid0(VALU_DEP_1)
	v_lshl_add_u32 v15, v7, 3, v15
.LBB19_18:                              ; =>This Inner Loop Header: Depth=1
	v_sub_nc_u32_e32 v16, v14, v11
	s_delay_alu instid0(VALU_DEP_1) | instskip(NEXT) | instid1(VALU_DEP_1)
	v_lshrrev_b32_e32 v16, 1, v16
	v_add_nc_u32_e32 v20, v16, v11
	s_delay_alu instid0(VALU_DEP_1) | instskip(SKIP_1) | instid1(VALU_DEP_2)
	v_not_b32_e32 v16, v20
	v_lshl_add_u32 v17, v20, 3, v13
	v_lshl_add_u32 v18, v16, 3, v15
	ds_load_b64 v[16:17], v17
	ds_load_b64 v[18:19], v18
	s_wait_dscnt 0x0
	v_cmp_lt_f64_e64 s0, v[18:19], v[16:17]
	v_add_nc_u32_e32 v16, 1, v20
	s_delay_alu instid0(VALU_DEP_1) | instskip(NEXT) | instid1(VALU_DEP_1)
	v_dual_cndmask_b32 v11, v16, v11, s0 :: v_dual_cndmask_b32 v14, v14, v20, s0
	v_cmp_ge_i32_e64 s0, v11, v14
	s_or_b32 s2, s0, s2
	s_delay_alu instid0(SALU_CYCLE_1)
	s_and_not1_b32 exec_lo, exec_lo, s2
	s_cbranch_execnz .LBB19_18
; %bb.19:
	s_or_b32 exec_lo, exec_lo, s2
.LBB19_20:
	s_delay_alu instid0(SALU_CYCLE_1) | instskip(SKIP_2) | instid1(VALU_DEP_2)
	s_or_b32 exec_lo, exec_lo, s1
	v_add_nc_u32_e32 v12, v7, v12
	v_lshl_add_u32 v13, v11, 3, v13
	v_sub_nc_u32_e32 v12, v12, v11
	s_delay_alu instid0(VALU_DEP_1)
	v_lshlrev_b32_e32 v16, 3, v12
	ds_load_b64 v[14:15], v13
	ds_load_b64 v[16:17], v16
	v_add_nc_u32_e32 v13, v11, v10
	v_cmp_gt_i32_e64 s2, v6, v12
	v_min_i32_e32 v10, 0, v8
	; wave barrier
	s_delay_alu instid0(VALU_DEP_3) | instskip(SKIP_3) | instid1(VALU_DEP_1)
	v_cmp_le_i32_e64 s1, v7, v13
	s_wait_dscnt 0x3
	ds_store_b32 v1, v5
	v_add_min_i32_e64 v11, v10, 16, v8
	; wave barrier
	v_add_min_i32_e64 v5, v11, 16, v8
	s_wait_dscnt 0x1
	v_cmp_lt_f64_e64 s0, v[16:17], v[14:15]
	s_or_b32 s0, s1, s0
	s_delay_alu instid0(SALU_CYCLE_1) | instskip(SKIP_2) | instid1(VALU_DEP_1)
	s_and_b32 s0, s2, s0
	s_mov_b32 s2, 0
	v_dual_cndmask_b32 v6, v13, v12, s0 :: v_dual_cndmask_b32 v15, v15, v17, s0
	v_dual_lshlrev_b32 v7, 2, v6 :: v_dual_min_i32 v6, v8, v9
	v_dual_sub_nc_u32 v8, v5, v11 :: v_dual_sub_nc_u32 v9, v11, v10
	v_cndmask_b32_e64 v14, v14, v16, s0
	ds_load_b32 v13, v7
	v_sub_nc_u32_e32 v7, v6, v8
	v_cmp_ge_i32_e64 s1, v6, v8
	; wave barrier
	s_delay_alu instid0(VALU_DEP_1)
	v_dual_cndmask_b32 v12, 0, v7, s1 :: v_dual_min_i32 v8, v6, v9
	v_lshlrev_b32_e32 v7, 3, v10
	s_mov_b32 s1, exec_lo
	ds_store_b64 v0, v[14:15]
	; wave barrier
	v_cmpx_lt_i32_e64 v12, v8
	s_cbranch_execz .LBB19_24
; %bb.21:
	v_lshlrev_b32_e32 v9, 3, v6
	s_delay_alu instid0(VALU_DEP_1)
	v_lshl_add_u32 v9, v11, 3, v9
.LBB19_22:                              ; =>This Inner Loop Header: Depth=1
	v_sub_nc_u32_e32 v14, v8, v12
	s_delay_alu instid0(VALU_DEP_1) | instskip(NEXT) | instid1(VALU_DEP_1)
	v_lshrrev_b32_e32 v14, 1, v14
	v_add_nc_u32_e32 v18, v14, v12
	s_delay_alu instid0(VALU_DEP_1) | instskip(SKIP_1) | instid1(VALU_DEP_2)
	v_not_b32_e32 v14, v18
	v_lshl_add_u32 v15, v18, 3, v7
	v_lshl_add_u32 v16, v14, 3, v9
	ds_load_b64 v[14:15], v15
	ds_load_b64 v[16:17], v16
	s_wait_dscnt 0x0
	v_cmp_lt_f64_e64 s0, v[16:17], v[14:15]
	v_add_nc_u32_e32 v14, 1, v18
	s_delay_alu instid0(VALU_DEP_1) | instskip(NEXT) | instid1(VALU_DEP_1)
	v_dual_cndmask_b32 v12, v14, v12, s0 :: v_dual_cndmask_b32 v8, v8, v18, s0
	v_cmp_ge_i32_e64 s0, v12, v8
	s_or_b32 s2, s0, s2
	s_delay_alu instid0(SALU_CYCLE_1)
	s_and_not1_b32 exec_lo, exec_lo, s2
	s_cbranch_execnz .LBB19_22
; %bb.23:
	s_or_b32 exec_lo, exec_lo, s2
.LBB19_24:
	s_delay_alu instid0(SALU_CYCLE_1) | instskip(SKIP_1) | instid1(VALU_DEP_1)
	s_or_b32 exec_lo, exec_lo, s1
	v_add_nc_u32_e32 v6, v11, v6
	v_sub_nc_u32_e32 v14, v6, v12
	v_lshl_add_u32 v6, v12, 3, v7
	s_delay_alu instid0(VALU_DEP_2)
	v_lshlrev_b32_e32 v8, 3, v14
	ds_load_b64 v[6:7], v6
	ds_load_b64 v[8:9], v8
	; wave barrier
	s_wait_dscnt 0x3
	ds_store_b32 v1, v13
	; wave barrier
	s_and_saveexec_b32 s0, vcc_lo
	s_cbranch_execz .LBB19_26
; %bb.25:
	s_wait_dscnt 0x1
	v_cmp_lt_f64_e32 vcc_lo, v[8:9], v[6:7]
	v_add_nc_u32_e32 v1, v12, v10
	v_cmp_gt_i32_e64 s1, v5, v14
	s_delay_alu instid0(VALU_DEP_2) | instskip(SKIP_1) | instid1(SALU_CYCLE_1)
	v_cmp_le_i32_e64 s0, v11, v1
	s_or_b32 s0, s0, vcc_lo
	s_and_b32 vcc_lo, s1, s0
	s_delay_alu instid0(SALU_CYCLE_1) | instskip(NEXT) | instid1(VALU_DEP_1)
	v_dual_cndmask_b32 v7, v7, v9, vcc_lo :: v_dual_cndmask_b32 v1, v1, v14, vcc_lo
	v_dual_cndmask_b32 v6, v6, v8 :: v_dual_lshlrev_b32 v1, 2, v1
	ds_load_b32 v10, v1
	v_mov_b32_e32 v1, 0
	s_delay_alu instid0(VALU_DEP_1) | instskip(SKIP_1) | instid1(VALU_DEP_2)
	v_mov_b32_e32 v5, v1
	v_add_nc_u64_e32 v[0:1], s[4:5], v[0:1]
	v_add_nc_u64_e32 v[2:3], v[2:3], v[4:5]
	global_store_b64 v[0:1], v[6:7], off
	s_wait_dscnt 0x0
	global_store_b32 v[2:3], v10, off
.LBB19_26:
	s_endpgm
	.section	.rodata,"a",@progbits
	.p2align	6, 0x0
	.amdhsa_kernel _Z26sort_keys_values_segmentedILj32ELj32ELj1ELb0EdiN10test_utils4lessEEvPT3_PT4_PKjT5_
		.amdhsa_group_segment_fixed_size 264
		.amdhsa_private_segment_fixed_size 0
		.amdhsa_kernarg_size 28
		.amdhsa_user_sgpr_count 2
		.amdhsa_user_sgpr_dispatch_ptr 0
		.amdhsa_user_sgpr_queue_ptr 0
		.amdhsa_user_sgpr_kernarg_segment_ptr 1
		.amdhsa_user_sgpr_dispatch_id 0
		.amdhsa_user_sgpr_kernarg_preload_length 0
		.amdhsa_user_sgpr_kernarg_preload_offset 0
		.amdhsa_user_sgpr_private_segment_size 0
		.amdhsa_wavefront_size32 1
		.amdhsa_uses_dynamic_stack 0
		.amdhsa_enable_private_segment 0
		.amdhsa_system_sgpr_workgroup_id_x 1
		.amdhsa_system_sgpr_workgroup_id_y 0
		.amdhsa_system_sgpr_workgroup_id_z 0
		.amdhsa_system_sgpr_workgroup_info 0
		.amdhsa_system_vgpr_workitem_id 0
		.amdhsa_next_free_vgpr 21
		.amdhsa_next_free_sgpr 8
		.amdhsa_named_barrier_count 0
		.amdhsa_reserve_vcc 1
		.amdhsa_float_round_mode_32 0
		.amdhsa_float_round_mode_16_64 0
		.amdhsa_float_denorm_mode_32 3
		.amdhsa_float_denorm_mode_16_64 3
		.amdhsa_fp16_overflow 0
		.amdhsa_memory_ordered 1
		.amdhsa_forward_progress 1
		.amdhsa_inst_pref_size 18
		.amdhsa_round_robin_scheduling 0
		.amdhsa_exception_fp_ieee_invalid_op 0
		.amdhsa_exception_fp_denorm_src 0
		.amdhsa_exception_fp_ieee_div_zero 0
		.amdhsa_exception_fp_ieee_overflow 0
		.amdhsa_exception_fp_ieee_underflow 0
		.amdhsa_exception_fp_ieee_inexact 0
		.amdhsa_exception_int_div_zero 0
	.end_amdhsa_kernel
	.section	.text._Z26sort_keys_values_segmentedILj32ELj32ELj1ELb0EdiN10test_utils4lessEEvPT3_PT4_PKjT5_,"axG",@progbits,_Z26sort_keys_values_segmentedILj32ELj32ELj1ELb0EdiN10test_utils4lessEEvPT3_PT4_PKjT5_,comdat
.Lfunc_end19:
	.size	_Z26sort_keys_values_segmentedILj32ELj32ELj1ELb0EdiN10test_utils4lessEEvPT3_PT4_PKjT5_, .Lfunc_end19-_Z26sort_keys_values_segmentedILj32ELj32ELj1ELb0EdiN10test_utils4lessEEvPT3_PT4_PKjT5_
                                        ; -- End function
	.set _Z26sort_keys_values_segmentedILj32ELj32ELj1ELb0EdiN10test_utils4lessEEvPT3_PT4_PKjT5_.num_vgpr, 21
	.set _Z26sort_keys_values_segmentedILj32ELj32ELj1ELb0EdiN10test_utils4lessEEvPT3_PT4_PKjT5_.num_agpr, 0
	.set _Z26sort_keys_values_segmentedILj32ELj32ELj1ELb0EdiN10test_utils4lessEEvPT3_PT4_PKjT5_.numbered_sgpr, 8
	.set _Z26sort_keys_values_segmentedILj32ELj32ELj1ELb0EdiN10test_utils4lessEEvPT3_PT4_PKjT5_.num_named_barrier, 0
	.set _Z26sort_keys_values_segmentedILj32ELj32ELj1ELb0EdiN10test_utils4lessEEvPT3_PT4_PKjT5_.private_seg_size, 0
	.set _Z26sort_keys_values_segmentedILj32ELj32ELj1ELb0EdiN10test_utils4lessEEvPT3_PT4_PKjT5_.uses_vcc, 1
	.set _Z26sort_keys_values_segmentedILj32ELj32ELj1ELb0EdiN10test_utils4lessEEvPT3_PT4_PKjT5_.uses_flat_scratch, 0
	.set _Z26sort_keys_values_segmentedILj32ELj32ELj1ELb0EdiN10test_utils4lessEEvPT3_PT4_PKjT5_.has_dyn_sized_stack, 0
	.set _Z26sort_keys_values_segmentedILj32ELj32ELj1ELb0EdiN10test_utils4lessEEvPT3_PT4_PKjT5_.has_recursion, 0
	.set _Z26sort_keys_values_segmentedILj32ELj32ELj1ELb0EdiN10test_utils4lessEEvPT3_PT4_PKjT5_.has_indirect_call, 0
	.section	.AMDGPU.csdata,"",@progbits
; Kernel info:
; codeLenInByte = 2204
; TotalNumSgprs: 10
; NumVgprs: 21
; ScratchSize: 0
; MemoryBound: 0
; FloatMode: 240
; IeeeMode: 1
; LDSByteSize: 264 bytes/workgroup (compile time only)
; SGPRBlocks: 0
; VGPRBlocks: 1
; NumSGPRsForWavesPerEU: 10
; NumVGPRsForWavesPerEU: 21
; NamedBarCnt: 0
; Occupancy: 16
; WaveLimiterHint : 0
; COMPUTE_PGM_RSRC2:SCRATCH_EN: 0
; COMPUTE_PGM_RSRC2:USER_SGPR: 2
; COMPUTE_PGM_RSRC2:TRAP_HANDLER: 0
; COMPUTE_PGM_RSRC2:TGID_X_EN: 1
; COMPUTE_PGM_RSRC2:TGID_Y_EN: 0
; COMPUTE_PGM_RSRC2:TGID_Z_EN: 0
; COMPUTE_PGM_RSRC2:TIDIG_COMP_CNT: 0
	.section	.text._Z26sort_keys_values_segmentedILj64ELj16ELj1ELb0EfcN10test_utils4lessEEvPT3_PT4_PKjT5_,"axG",@progbits,_Z26sort_keys_values_segmentedILj64ELj16ELj1ELb0EfcN10test_utils4lessEEvPT3_PT4_PKjT5_,comdat
	.protected	_Z26sort_keys_values_segmentedILj64ELj16ELj1ELb0EfcN10test_utils4lessEEvPT3_PT4_PKjT5_ ; -- Begin function _Z26sort_keys_values_segmentedILj64ELj16ELj1ELb0EfcN10test_utils4lessEEvPT3_PT4_PKjT5_
	.globl	_Z26sort_keys_values_segmentedILj64ELj16ELj1ELb0EfcN10test_utils4lessEEvPT3_PT4_PKjT5_
	.p2align	8
	.type	_Z26sort_keys_values_segmentedILj64ELj16ELj1ELb0EfcN10test_utils4lessEEvPT3_PT4_PKjT5_,@function
_Z26sort_keys_values_segmentedILj64ELj16ELj1ELb0EfcN10test_utils4lessEEvPT3_PT4_PKjT5_: ; @_Z26sort_keys_values_segmentedILj64ELj16ELj1ELb0EfcN10test_utils4lessEEvPT3_PT4_PKjT5_
; %bb.0:
	s_load_b64 s[2:3], s[0:1], 0x10
	s_bfe_u32 s4, ttmp6, 0x4000c
	s_and_b32 s5, ttmp6, 15
	s_add_co_i32 s4, s4, 1
	s_getreg_b32 s6, hwreg(HW_REG_IB_STS2, 6, 4)
	s_mul_i32 s4, ttmp9, s4
	v_dual_mov_b32 v5, 0 :: v_dual_lshrrev_b32 v14, 4, v0
	s_add_co_i32 s5, s5, s4
	s_cmp_eq_u32 s6, 0
	v_mbcnt_lo_u32_b32 v10, -1, 0
	s_cselect_b32 s4, ttmp9, s5
                                        ; implicit-def: $vgpr17
	s_delay_alu instid0(SALU_CYCLE_1) | instskip(NEXT) | instid1(VALU_DEP_2)
	v_lshl_or_b32 v0, s4, 2, v14
	v_dual_mov_b32 v7, v5 :: v_dual_bitop2_b32 v6, 15, v10 bitop3:0x40
	s_delay_alu instid0(VALU_DEP_2)
	v_lshlrev_b32_e32 v4, 4, v0
	s_wait_kmcnt 0x0
	global_load_b32 v8, v0, s[2:3] scale_offset
	s_wait_xcnt 0x0
	s_load_b128 s[0:3], s[0:1], 0x0
	v_lshlrev_b32_e32 v2, 2, v6
	s_wait_kmcnt 0x0
	v_lshl_add_u64 v[0:1], v[4:5], 2, s[0:1]
	s_wait_loadcnt 0x0
	v_cmp_lt_u32_e32 vcc_lo, v6, v8
	s_and_saveexec_b32 s0, vcc_lo
	s_cbranch_execz .LBB20_2
; %bb.1:
	v_mov_b32_e32 v3, v5
	s_delay_alu instid0(VALU_DEP_1)
	v_add_nc_u64_e32 v[12:13], v[0:1], v[2:3]
	global_load_b32 v17, v[12:13], off
.LBB20_2:
	s_wait_xcnt 0x0
	s_or_b32 exec_lo, exec_lo, s0
	v_add_nc_u64_e32 v[4:5], s[2:3], v[4:5]
                                        ; implicit-def: $vgpr11
	s_delay_alu instid0(VALU_DEP_1)
	v_add_nc_u64_e32 v[4:5], v[4:5], v[6:7]
	s_and_saveexec_b32 s0, vcc_lo
	s_cbranch_execz .LBB20_4
; %bb.3:
	global_load_u8 v11, v[4:5], off
.LBB20_4:
	s_wait_xcnt 0x0
	s_or_b32 exec_lo, exec_lo, s0
	v_and_b32_e32 v3, 14, v10
	s_mov_b32 s2, 0
	s_mov_b32 s1, exec_lo
	; wave barrier
	s_delay_alu instid0(VALU_DEP_1) | instskip(NEXT) | instid1(VALU_DEP_1)
	v_min_i32_e32 v13, v8, v3
	v_add_min_i32_e64 v12, v13, 1, v8
	s_delay_alu instid0(VALU_DEP_1) | instskip(NEXT) | instid1(VALU_DEP_1)
	v_add_min_i32_e64 v9, v12, 1, v8
	v_dual_sub_nc_u32 v7, v9, v12 :: v_dual_bitop2_b32 v3, 1, v10 bitop3:0x40
	s_delay_alu instid0(VALU_DEP_1) | instskip(SKIP_1) | instid1(VALU_DEP_2)
	v_min_i32_e32 v15, v8, v3
	v_mul_u32_u24_e32 v3, 0x44, v14
	v_sub_nc_u32_e32 v16, v15, v7
	v_cmp_ge_i32_e64 s0, v15, v7
	v_mad_u32_u24 v7, 0x44, v14, v2
	s_delay_alu instid0(VALU_DEP_2)
	v_dual_cndmask_b32 v16, 0, v16, s0 :: v_dual_sub_nc_u32 v18, v12, v13
	v_lshlrev_b32_e32 v19, 2, v13
	s_wait_loadcnt 0x0
	ds_store_b32 v7, v17
	; wave barrier
	v_min_i32_e32 v18, v15, v18
	v_mad_u32_u24 v14, 0x44, v14, v19
	s_delay_alu instid0(VALU_DEP_2)
	v_cmpx_lt_i32_e64 v16, v18
	s_cbranch_execz .LBB20_8
; %bb.5:
	v_dual_lshlrev_b32 v17, 2, v12 :: v_dual_lshlrev_b32 v19, 2, v15
	s_delay_alu instid0(VALU_DEP_1)
	v_add3_u32 v17, v3, v17, v19
.LBB20_6:                               ; =>This Inner Loop Header: Depth=1
	v_sub_nc_u32_e32 v19, v18, v16
	s_delay_alu instid0(VALU_DEP_1) | instskip(NEXT) | instid1(VALU_DEP_1)
	v_lshrrev_b32_e32 v19, 1, v19
	v_add_nc_u32_e32 v19, v19, v16
	s_delay_alu instid0(VALU_DEP_1) | instskip(SKIP_1) | instid1(VALU_DEP_2)
	v_not_b32_e32 v20, v19
	v_lshl_add_u32 v21, v19, 2, v14
	v_lshl_add_u32 v20, v20, 2, v17
	ds_load_b32 v21, v21
	ds_load_b32 v20, v20
	s_wait_dscnt 0x0
	v_cmp_lt_f32_e64 s0, v20, v21
	s_delay_alu instid0(VALU_DEP_1) | instskip(NEXT) | instid1(VALU_DEP_1)
	v_dual_add_nc_u32 v22, 1, v19 :: v_dual_cndmask_b32 v18, v18, v19, s0
	v_cndmask_b32_e64 v16, v22, v16, s0
	s_delay_alu instid0(VALU_DEP_1) | instskip(SKIP_1) | instid1(SALU_CYCLE_1)
	v_cmp_ge_i32_e64 s0, v16, v18
	s_or_b32 s2, s0, s2
	s_and_not1_b32 exec_lo, exec_lo, s2
	s_cbranch_execnz .LBB20_6
; %bb.7:
	s_or_b32 exec_lo, exec_lo, s2
.LBB20_8:
	s_delay_alu instid0(SALU_CYCLE_1) | instskip(SKIP_2) | instid1(VALU_DEP_2)
	s_or_b32 exec_lo, exec_lo, s1
	v_add_nc_u32_e32 v15, v12, v15
	v_lshl_add_u32 v14, v16, 2, v14
	v_dual_add_nc_u32 v13, v16, v13 :: v_dual_sub_nc_u32 v15, v15, v16
	s_delay_alu instid0(VALU_DEP_1) | instskip(NEXT) | instid1(VALU_DEP_2)
	v_cmp_le_i32_e64 s0, v12, v13
	v_lshl_add_u32 v17, v15, 2, v3
	v_cmp_gt_i32_e64 s2, v9, v15
	ds_load_b32 v18, v14
	ds_load_b32 v17, v17
	v_and_b32_e32 v14, 12, v10
	; wave barrier
	s_wait_dscnt 0x0
	v_cmp_lt_f32_e64 s1, v17, v18
	s_or_b32 s0, s0, s1
	s_mov_b32 s1, exec_lo
	s_and_b32 s0, s2, s0
	s_delay_alu instid0(SALU_CYCLE_1) | instskip(SKIP_2) | instid1(VALU_DEP_2)
	v_dual_cndmask_b32 v19, v18, v17, s0 :: v_dual_min_i32 v14, v8, v14
	v_dual_add_nc_u32 v9, v3, v6 :: v_dual_cndmask_b32 v15, v13, v15, s0
	s_mov_b32 s2, 0
	v_add_min_i32_e64 v12, v14, 2, v8
	ds_store_b8 v9, v11
	v_dual_add_nc_u32 v16, v3, v15 :: v_dual_bitop2_b32 v11, 3, v10 bitop3:0x40
	v_add_min_i32_e64 v13, v12, 2, v8
	; wave barrier
	s_delay_alu instid0(VALU_DEP_2)
	v_min_i32_e32 v15, v8, v11
	ds_load_u8 v11, v16
	v_sub_nc_u32_e32 v17, v13, v12
	; wave barrier
	ds_store_b32 v7, v19
	v_dual_sub_nc_u32 v18, v12, v14 :: v_dual_sub_nc_u32 v16, v15, v17
	v_cmp_ge_i32_e64 s0, v15, v17
	v_lshl_add_u32 v17, v14, 2, v3
	s_delay_alu instid0(VALU_DEP_3) | instskip(NEXT) | instid1(VALU_DEP_3)
	v_min_i32_e32 v18, v15, v18
	; wave barrier
	v_cndmask_b32_e64 v16, 0, v16, s0
	s_delay_alu instid0(VALU_DEP_1)
	v_cmpx_lt_i32_e64 v16, v18
	s_cbranch_execz .LBB20_12
; %bb.9:
	v_dual_lshlrev_b32 v19, 2, v12 :: v_dual_lshlrev_b32 v20, 2, v15
	s_delay_alu instid0(VALU_DEP_1)
	v_add3_u32 v19, v3, v19, v20
.LBB20_10:                              ; =>This Inner Loop Header: Depth=1
	v_sub_nc_u32_e32 v20, v18, v16
	s_delay_alu instid0(VALU_DEP_1) | instskip(NEXT) | instid1(VALU_DEP_1)
	v_lshrrev_b32_e32 v20, 1, v20
	v_add_nc_u32_e32 v20, v20, v16
	s_delay_alu instid0(VALU_DEP_1) | instskip(SKIP_1) | instid1(VALU_DEP_2)
	v_not_b32_e32 v21, v20
	v_lshl_add_u32 v22, v20, 2, v17
	v_lshl_add_u32 v21, v21, 2, v19
	ds_load_b32 v22, v22
	ds_load_b32 v21, v21
	s_wait_dscnt 0x0
	v_cmp_lt_f32_e64 s0, v21, v22
	s_delay_alu instid0(VALU_DEP_1) | instskip(NEXT) | instid1(VALU_DEP_1)
	v_dual_add_nc_u32 v23, 1, v20 :: v_dual_cndmask_b32 v18, v18, v20, s0
	v_cndmask_b32_e64 v16, v23, v16, s0
	s_delay_alu instid0(VALU_DEP_1) | instskip(SKIP_1) | instid1(SALU_CYCLE_1)
	v_cmp_ge_i32_e64 s0, v16, v18
	s_or_b32 s2, s0, s2
	s_and_not1_b32 exec_lo, exec_lo, s2
	s_cbranch_execnz .LBB20_10
; %bb.11:
	s_or_b32 exec_lo, exec_lo, s2
.LBB20_12:
	s_delay_alu instid0(SALU_CYCLE_1) | instskip(SKIP_2) | instid1(VALU_DEP_2)
	s_or_b32 exec_lo, exec_lo, s1
	v_add_nc_u32_e32 v15, v12, v15
	v_lshl_add_u32 v17, v16, 2, v17
	v_dual_add_nc_u32 v14, v16, v14 :: v_dual_sub_nc_u32 v15, v15, v16
	v_and_b32_e32 v16, 8, v10
	s_delay_alu instid0(VALU_DEP_2) | instskip(SKIP_1) | instid1(VALU_DEP_4)
	v_cmp_le_i32_e64 s0, v12, v14
	v_and_b32_e32 v10, 7, v10
	v_lshl_add_u32 v18, v15, 2, v3
	ds_load_b32 v17, v17
	ds_load_b32 v18, v18
	v_cmp_gt_i32_e64 s2, v13, v15
	; wave barrier
	s_wait_dscnt 0x3
	ds_store_b8 v9, v11
	; wave barrier
	s_wait_dscnt 0x1
	v_cmp_lt_f32_e64 s1, v18, v17
	s_or_b32 s0, s0, s1
	s_mov_b32 s1, exec_lo
	s_and_b32 s0, s2, s0
	s_delay_alu instid0(SALU_CYCLE_1) | instskip(SKIP_2) | instid1(VALU_DEP_2)
	v_dual_cndmask_b32 v18, v17, v18, s0 :: v_dual_min_i32 v12, v8, v16
	v_cndmask_b32_e64 v14, v14, v15, s0
	s_mov_b32 s2, 0
	v_add_min_i32_e64 v13, v12, 4, v8
	s_delay_alu instid0(VALU_DEP_1)
	v_dual_add_nc_u32 v15, v3, v14 :: v_dual_sub_nc_u32 v17, v13, v12
	v_add_min_i32_e64 v11, v13, 4, v8
	v_min_i32_e32 v14, v8, v10
	ds_load_u8 v10, v15
	; wave barrier
	v_sub_nc_u32_e32 v16, v11, v13
	ds_store_b32 v7, v18
	v_min_i32_e32 v17, v14, v17
	; wave barrier
	v_sub_nc_u32_e32 v15, v14, v16
	v_cmp_ge_i32_e64 s0, v14, v16
	v_lshl_add_u32 v16, v12, 2, v3
	s_delay_alu instid0(VALU_DEP_2) | instskip(NEXT) | instid1(VALU_DEP_1)
	v_cndmask_b32_e64 v15, 0, v15, s0
	v_cmpx_lt_i32_e64 v15, v17
	s_cbranch_execz .LBB20_16
; %bb.13:
	v_dual_lshlrev_b32 v18, 2, v13 :: v_dual_lshlrev_b32 v19, 2, v14
	s_delay_alu instid0(VALU_DEP_1)
	v_add3_u32 v18, v3, v18, v19
.LBB20_14:                              ; =>This Inner Loop Header: Depth=1
	v_sub_nc_u32_e32 v19, v17, v15
	s_delay_alu instid0(VALU_DEP_1) | instskip(NEXT) | instid1(VALU_DEP_1)
	v_lshrrev_b32_e32 v19, 1, v19
	v_add_nc_u32_e32 v19, v19, v15
	s_delay_alu instid0(VALU_DEP_1) | instskip(SKIP_1) | instid1(VALU_DEP_2)
	v_not_b32_e32 v20, v19
	v_lshl_add_u32 v21, v19, 2, v16
	v_lshl_add_u32 v20, v20, 2, v18
	ds_load_b32 v21, v21
	ds_load_b32 v20, v20
	s_wait_dscnt 0x0
	v_cmp_lt_f32_e64 s0, v20, v21
	s_delay_alu instid0(VALU_DEP_1) | instskip(NEXT) | instid1(VALU_DEP_1)
	v_dual_add_nc_u32 v22, 1, v19 :: v_dual_cndmask_b32 v17, v17, v19, s0
	v_cndmask_b32_e64 v15, v22, v15, s0
	s_delay_alu instid0(VALU_DEP_1) | instskip(SKIP_1) | instid1(SALU_CYCLE_1)
	v_cmp_ge_i32_e64 s0, v15, v17
	s_or_b32 s2, s0, s2
	s_and_not1_b32 exec_lo, exec_lo, s2
	s_cbranch_execnz .LBB20_14
; %bb.15:
	s_or_b32 exec_lo, exec_lo, s2
.LBB20_16:
	s_delay_alu instid0(SALU_CYCLE_1) | instskip(SKIP_2) | instid1(VALU_DEP_2)
	s_or_b32 exec_lo, exec_lo, s1
	v_add_nc_u32_e32 v14, v13, v14
	v_lshl_add_u32 v16, v15, 2, v16
	v_dual_sub_nc_u32 v14, v14, v15 :: v_dual_add_nc_u32 v15, v15, v12
	v_min_i32_e32 v12, 0, v8
	s_delay_alu instid0(VALU_DEP_2) | instskip(NEXT) | instid1(VALU_DEP_3)
	v_lshl_add_u32 v17, v14, 2, v3
	v_cmp_le_i32_e64 s0, v13, v15
	v_cmp_gt_i32_e64 s2, v11, v14
	s_delay_alu instid0(VALU_DEP_4)
	v_add_min_i32_e64 v11, v12, 8, v8
	ds_load_b32 v16, v16
	ds_load_b32 v17, v17
	; wave barrier
	s_wait_dscnt 0x3
	ds_store_b8 v9, v10
	v_add_min_i32_e64 v10, v11, 8, v8
	; wave barrier
	s_wait_dscnt 0x1
	v_cmp_lt_f32_e64 s1, v17, v16
	s_or_b32 s0, s0, s1
	s_mov_b32 s1, exec_lo
	s_and_b32 s0, s2, s0
	s_mov_b32 s2, 0
	v_dual_cndmask_b32 v16, v16, v17, s0 :: v_dual_cndmask_b32 v13, v15, v14, s0
	v_sub_nc_u32_e32 v15, v11, v12
	s_delay_alu instid0(VALU_DEP_2)
	v_dual_add_nc_u32 v14, v3, v13 :: v_dual_min_i32 v13, v8, v6
	v_sub_nc_u32_e32 v6, v10, v11
	ds_load_u8 v8, v14
	v_dual_sub_nc_u32 v14, v13, v6 :: v_dual_min_i32 v15, v13, v15
	v_cmp_ge_i32_e64 s0, v13, v6
	; wave barrier
	ds_store_b32 v7, v16
	v_cndmask_b32_e64 v6, 0, v14, s0
	v_lshl_add_u32 v14, v12, 2, v3
	; wave barrier
	s_delay_alu instid0(VALU_DEP_2)
	v_cmpx_lt_i32_e64 v6, v15
	s_cbranch_execz .LBB20_20
; %bb.17:
	v_dual_lshlrev_b32 v7, 2, v11 :: v_dual_lshlrev_b32 v16, 2, v13
	s_delay_alu instid0(VALU_DEP_1)
	v_add3_u32 v7, v3, v7, v16
.LBB20_18:                              ; =>This Inner Loop Header: Depth=1
	v_sub_nc_u32_e32 v16, v15, v6
	s_delay_alu instid0(VALU_DEP_1) | instskip(NEXT) | instid1(VALU_DEP_1)
	v_lshrrev_b32_e32 v16, 1, v16
	v_add_nc_u32_e32 v16, v16, v6
	s_delay_alu instid0(VALU_DEP_1) | instskip(SKIP_1) | instid1(VALU_DEP_2)
	v_not_b32_e32 v17, v16
	v_lshl_add_u32 v18, v16, 2, v14
	v_lshl_add_u32 v17, v17, 2, v7
	ds_load_b32 v18, v18
	ds_load_b32 v17, v17
	s_wait_dscnt 0x0
	v_cmp_lt_f32_e64 s0, v17, v18
	s_delay_alu instid0(VALU_DEP_1) | instskip(NEXT) | instid1(VALU_DEP_1)
	v_dual_add_nc_u32 v19, 1, v16 :: v_dual_cndmask_b32 v15, v15, v16, s0
	v_cndmask_b32_e64 v6, v19, v6, s0
	s_delay_alu instid0(VALU_DEP_1) | instskip(SKIP_1) | instid1(SALU_CYCLE_1)
	v_cmp_ge_i32_e64 s0, v6, v15
	s_or_b32 s2, s0, s2
	s_and_not1_b32 exec_lo, exec_lo, s2
	s_cbranch_execnz .LBB20_18
; %bb.19:
	s_or_b32 exec_lo, exec_lo, s2
.LBB20_20:
	s_delay_alu instid0(SALU_CYCLE_1) | instskip(SKIP_1) | instid1(VALU_DEP_1)
	s_or_b32 exec_lo, exec_lo, s1
	v_add_nc_u32_e32 v7, v11, v13
	v_sub_nc_u32_e32 v13, v7, v6
	v_lshl_add_u32 v7, v6, 2, v14
	s_delay_alu instid0(VALU_DEP_2)
	v_lshl_add_u32 v14, v13, 2, v3
	ds_load_b32 v7, v7
	ds_load_b32 v14, v14
	; wave barrier
	s_wait_dscnt 0x3
	ds_store_b8 v9, v8
	; wave barrier
	s_and_saveexec_b32 s0, vcc_lo
	s_cbranch_execz .LBB20_22
; %bb.21:
	v_add_nc_u32_e32 v6, v6, v12
	s_wait_dscnt 0x1
	v_cmp_lt_f32_e32 vcc_lo, v14, v7
	v_cmp_gt_i32_e64 s1, v10, v13
	s_delay_alu instid0(VALU_DEP_3) | instskip(SKIP_1) | instid1(SALU_CYCLE_1)
	v_cmp_le_i32_e64 s0, v11, v6
	s_or_b32 s0, s0, vcc_lo
	s_and_b32 vcc_lo, s1, s0
	v_cndmask_b32_e32 v6, v6, v13, vcc_lo
	s_delay_alu instid0(VALU_DEP_1) | instskip(SKIP_2) | instid1(VALU_DEP_1)
	v_add_nc_u32_e32 v3, v3, v6
	ds_load_u8 v6, v3
	v_mov_b32_e32 v3, 0
	v_add_nc_u64_e32 v[0:1], v[0:1], v[2:3]
	v_cndmask_b32_e32 v2, v7, v14, vcc_lo
	global_store_b32 v[0:1], v2, off
	s_wait_dscnt 0x0
	global_store_b8 v[4:5], v6, off
.LBB20_22:
	s_endpgm
	.section	.rodata,"a",@progbits
	.p2align	6, 0x0
	.amdhsa_kernel _Z26sort_keys_values_segmentedILj64ELj16ELj1ELb0EfcN10test_utils4lessEEvPT3_PT4_PKjT5_
		.amdhsa_group_segment_fixed_size 272
		.amdhsa_private_segment_fixed_size 0
		.amdhsa_kernarg_size 28
		.amdhsa_user_sgpr_count 2
		.amdhsa_user_sgpr_dispatch_ptr 0
		.amdhsa_user_sgpr_queue_ptr 0
		.amdhsa_user_sgpr_kernarg_segment_ptr 1
		.amdhsa_user_sgpr_dispatch_id 0
		.amdhsa_user_sgpr_kernarg_preload_length 0
		.amdhsa_user_sgpr_kernarg_preload_offset 0
		.amdhsa_user_sgpr_private_segment_size 0
		.amdhsa_wavefront_size32 1
		.amdhsa_uses_dynamic_stack 0
		.amdhsa_enable_private_segment 0
		.amdhsa_system_sgpr_workgroup_id_x 1
		.amdhsa_system_sgpr_workgroup_id_y 0
		.amdhsa_system_sgpr_workgroup_id_z 0
		.amdhsa_system_sgpr_workgroup_info 0
		.amdhsa_system_vgpr_workitem_id 0
		.amdhsa_next_free_vgpr 24
		.amdhsa_next_free_sgpr 7
		.amdhsa_named_barrier_count 0
		.amdhsa_reserve_vcc 1
		.amdhsa_float_round_mode_32 0
		.amdhsa_float_round_mode_16_64 0
		.amdhsa_float_denorm_mode_32 3
		.amdhsa_float_denorm_mode_16_64 3
		.amdhsa_fp16_overflow 0
		.amdhsa_memory_ordered 1
		.amdhsa_forward_progress 1
		.amdhsa_inst_pref_size 15
		.amdhsa_round_robin_scheduling 0
		.amdhsa_exception_fp_ieee_invalid_op 0
		.amdhsa_exception_fp_denorm_src 0
		.amdhsa_exception_fp_ieee_div_zero 0
		.amdhsa_exception_fp_ieee_overflow 0
		.amdhsa_exception_fp_ieee_underflow 0
		.amdhsa_exception_fp_ieee_inexact 0
		.amdhsa_exception_int_div_zero 0
	.end_amdhsa_kernel
	.section	.text._Z26sort_keys_values_segmentedILj64ELj16ELj1ELb0EfcN10test_utils4lessEEvPT3_PT4_PKjT5_,"axG",@progbits,_Z26sort_keys_values_segmentedILj64ELj16ELj1ELb0EfcN10test_utils4lessEEvPT3_PT4_PKjT5_,comdat
.Lfunc_end20:
	.size	_Z26sort_keys_values_segmentedILj64ELj16ELj1ELb0EfcN10test_utils4lessEEvPT3_PT4_PKjT5_, .Lfunc_end20-_Z26sort_keys_values_segmentedILj64ELj16ELj1ELb0EfcN10test_utils4lessEEvPT3_PT4_PKjT5_
                                        ; -- End function
	.set _Z26sort_keys_values_segmentedILj64ELj16ELj1ELb0EfcN10test_utils4lessEEvPT3_PT4_PKjT5_.num_vgpr, 24
	.set _Z26sort_keys_values_segmentedILj64ELj16ELj1ELb0EfcN10test_utils4lessEEvPT3_PT4_PKjT5_.num_agpr, 0
	.set _Z26sort_keys_values_segmentedILj64ELj16ELj1ELb0EfcN10test_utils4lessEEvPT3_PT4_PKjT5_.numbered_sgpr, 7
	.set _Z26sort_keys_values_segmentedILj64ELj16ELj1ELb0EfcN10test_utils4lessEEvPT3_PT4_PKjT5_.num_named_barrier, 0
	.set _Z26sort_keys_values_segmentedILj64ELj16ELj1ELb0EfcN10test_utils4lessEEvPT3_PT4_PKjT5_.private_seg_size, 0
	.set _Z26sort_keys_values_segmentedILj64ELj16ELj1ELb0EfcN10test_utils4lessEEvPT3_PT4_PKjT5_.uses_vcc, 1
	.set _Z26sort_keys_values_segmentedILj64ELj16ELj1ELb0EfcN10test_utils4lessEEvPT3_PT4_PKjT5_.uses_flat_scratch, 0
	.set _Z26sort_keys_values_segmentedILj64ELj16ELj1ELb0EfcN10test_utils4lessEEvPT3_PT4_PKjT5_.has_dyn_sized_stack, 0
	.set _Z26sort_keys_values_segmentedILj64ELj16ELj1ELb0EfcN10test_utils4lessEEvPT3_PT4_PKjT5_.has_recursion, 0
	.set _Z26sort_keys_values_segmentedILj64ELj16ELj1ELb0EfcN10test_utils4lessEEvPT3_PT4_PKjT5_.has_indirect_call, 0
	.section	.AMDGPU.csdata,"",@progbits
; Kernel info:
; codeLenInByte = 1888
; TotalNumSgprs: 9
; NumVgprs: 24
; ScratchSize: 0
; MemoryBound: 0
; FloatMode: 240
; IeeeMode: 1
; LDSByteSize: 272 bytes/workgroup (compile time only)
; SGPRBlocks: 0
; VGPRBlocks: 1
; NumSGPRsForWavesPerEU: 9
; NumVGPRsForWavesPerEU: 24
; NamedBarCnt: 0
; Occupancy: 16
; WaveLimiterHint : 0
; COMPUTE_PGM_RSRC2:SCRATCH_EN: 0
; COMPUTE_PGM_RSRC2:USER_SGPR: 2
; COMPUTE_PGM_RSRC2:TRAP_HANDLER: 0
; COMPUTE_PGM_RSRC2:TGID_X_EN: 1
; COMPUTE_PGM_RSRC2:TGID_Y_EN: 0
; COMPUTE_PGM_RSRC2:TGID_Z_EN: 0
; COMPUTE_PGM_RSRC2:TIDIG_COMP_CNT: 0
	.section	.text._Z26sort_keys_values_segmentedILj256ELj2ELj1ELb0EjiN10test_utils4lessEEvPT3_PT4_PKjT5_,"axG",@progbits,_Z26sort_keys_values_segmentedILj256ELj2ELj1ELb0EjiN10test_utils4lessEEvPT3_PT4_PKjT5_,comdat
	.protected	_Z26sort_keys_values_segmentedILj256ELj2ELj1ELb0EjiN10test_utils4lessEEvPT3_PT4_PKjT5_ ; -- Begin function _Z26sort_keys_values_segmentedILj256ELj2ELj1ELb0EjiN10test_utils4lessEEvPT3_PT4_PKjT5_
	.globl	_Z26sort_keys_values_segmentedILj256ELj2ELj1ELb0EjiN10test_utils4lessEEvPT3_PT4_PKjT5_
	.p2align	8
	.type	_Z26sort_keys_values_segmentedILj256ELj2ELj1ELb0EjiN10test_utils4lessEEvPT3_PT4_PKjT5_,@function
_Z26sort_keys_values_segmentedILj256ELj2ELj1ELb0EjiN10test_utils4lessEEvPT3_PT4_PKjT5_: ; @_Z26sort_keys_values_segmentedILj256ELj2ELj1ELb0EjiN10test_utils4lessEEvPT3_PT4_PKjT5_
; %bb.0:
	s_load_b64 s[2:3], s[0:1], 0x10
	s_bfe_u32 s4, ttmp6, 0x4000c
	s_and_b32 s5, ttmp6, 15
	s_add_co_i32 s4, s4, 1
	s_getreg_b32 s6, hwreg(HW_REG_IB_STS2, 6, 4)
	s_mul_i32 s4, ttmp9, s4
	v_dual_lshrrev_b32 v11, 1, v0 :: v_dual_mov_b32 v5, 0
	s_add_co_i32 s5, s5, s4
	s_cmp_eq_u32 s6, 0
	v_mbcnt_lo_u32_b32 v1, -1, 0
	s_cselect_b32 s4, ttmp9, s5
                                        ; implicit-def: $vgpr14
	s_delay_alu instid0(SALU_CYCLE_1) | instskip(NEXT) | instid1(VALU_DEP_1)
	v_lshl_or_b32 v0, s4, 7, v11
	v_dual_lshlrev_b32 v4, 1, v0 :: v_dual_bitop2_b32 v10, 1, v1 bitop3:0x40
	s_wait_kmcnt 0x0
	global_load_b32 v8, v0, s[2:3] scale_offset
	s_wait_xcnt 0x0
	s_load_b128 s[0:3], s[0:1], 0x0
	v_lshlrev_b32_e32 v0, 2, v10
	s_wait_kmcnt 0x0
	v_lshl_add_u64 v[2:3], v[4:5], 2, s[0:1]
	s_wait_loadcnt 0x0
	v_cmp_lt_u32_e32 vcc_lo, v10, v8
	s_and_saveexec_b32 s0, vcc_lo
	s_cbranch_execz .LBB21_2
; %bb.1:
	v_mov_b32_e32 v1, v5
	s_delay_alu instid0(VALU_DEP_1)
	v_add_nc_u64_e32 v[6:7], v[2:3], v[0:1]
	global_load_b32 v14, v[6:7], off
.LBB21_2:
	s_wait_xcnt 0x0
	s_or_b32 exec_lo, exec_lo, s0
	v_lshl_add_u64 v[4:5], v[4:5], 2, s[2:3]
                                        ; implicit-def: $vgpr1
	s_and_saveexec_b32 s0, vcc_lo
	s_cbranch_execz .LBB21_4
; %bb.3:
	v_mov_b32_e32 v1, 0
	s_delay_alu instid0(VALU_DEP_1)
	v_add_nc_u64_e32 v[6:7], v[4:5], v[0:1]
	global_load_b32 v1, v[6:7], off
.LBB21_4:
	s_wait_xcnt 0x0
	s_or_b32 exec_lo, exec_lo, s0
	v_min_i32_e32 v9, 0, v8
	s_mov_b32 s2, 0
	s_mov_b32 s1, exec_lo
	; wave barrier
	s_delay_alu instid0(VALU_DEP_1) | instskip(SKIP_1) | instid1(VALU_DEP_2)
	v_add_min_i32_e64 v6, v9, 1, v8
	v_min_i32_e32 v12, v8, v10
	v_add_min_i32_e64 v7, v6, 1, v8
	v_mul_u32_u24_e32 v8, 12, v11
	s_delay_alu instid0(VALU_DEP_2) | instskip(NEXT) | instid1(VALU_DEP_1)
	v_dual_sub_nc_u32 v10, v7, v6 :: v_dual_sub_nc_u32 v15, v6, v9
	v_dual_lshlrev_b32 v16, 2, v9 :: v_dual_sub_nc_u32 v13, v12, v10
	v_cmp_ge_i32_e64 s0, v12, v10
	s_delay_alu instid0(VALU_DEP_1) | instskip(SKIP_1) | instid1(VALU_DEP_4)
	v_dual_cndmask_b32 v10, 0, v13, s0 :: v_dual_min_i32 v15, v12, v15
	v_mad_u32_u24 v13, v11, 12, v0
	v_mad_u32_u24 v11, v11, 12, v16
	s_wait_loadcnt 0x0
	ds_store_b32 v13, v14
	; wave barrier
	v_cmpx_lt_i32_e64 v10, v15
	s_cbranch_execz .LBB21_8
; %bb.5:
	v_dual_lshlrev_b32 v14, 2, v6 :: v_dual_lshlrev_b32 v16, 2, v12
	s_delay_alu instid0(VALU_DEP_1)
	v_add3_u32 v14, v8, v14, v16
.LBB21_6:                               ; =>This Inner Loop Header: Depth=1
	v_sub_nc_u32_e32 v16, v15, v10
	s_delay_alu instid0(VALU_DEP_1) | instskip(NEXT) | instid1(VALU_DEP_1)
	v_lshrrev_b32_e32 v16, 1, v16
	v_add_nc_u32_e32 v16, v16, v10
	s_delay_alu instid0(VALU_DEP_1) | instskip(SKIP_1) | instid1(VALU_DEP_2)
	v_not_b32_e32 v17, v16
	v_lshl_add_u32 v18, v16, 2, v11
	v_lshl_add_u32 v17, v17, 2, v14
	ds_load_b32 v18, v18
	ds_load_b32 v17, v17
	s_wait_dscnt 0x0
	v_cmp_lt_u32_e64 s0, v17, v18
	s_delay_alu instid0(VALU_DEP_1) | instskip(NEXT) | instid1(VALU_DEP_1)
	v_dual_add_nc_u32 v19, 1, v16 :: v_dual_cndmask_b32 v15, v15, v16, s0
	v_cndmask_b32_e64 v10, v19, v10, s0
	s_delay_alu instid0(VALU_DEP_1) | instskip(SKIP_1) | instid1(SALU_CYCLE_1)
	v_cmp_ge_i32_e64 s0, v10, v15
	s_or_b32 s2, s0, s2
	s_and_not1_b32 exec_lo, exec_lo, s2
	s_cbranch_execnz .LBB21_6
; %bb.7:
	s_or_b32 exec_lo, exec_lo, s2
.LBB21_8:
	s_delay_alu instid0(SALU_CYCLE_1) | instskip(SKIP_2) | instid1(VALU_DEP_2)
	s_or_b32 exec_lo, exec_lo, s1
	v_add_nc_u32_e32 v12, v6, v12
	v_lshl_add_u32 v11, v10, 2, v11
	v_sub_nc_u32_e32 v14, v12, v10
	s_delay_alu instid0(VALU_DEP_1)
	v_lshl_add_u32 v12, v14, 2, v8
	ds_load_b32 v11, v11
	ds_load_b32 v12, v12
	; wave barrier
	ds_store_b32 v13, v1
	; wave barrier
	s_and_saveexec_b32 s0, vcc_lo
	s_cbranch_execz .LBB21_10
; %bb.9:
	v_add_nc_u32_e32 v1, v10, v9
	s_wait_dscnt 0x1
	v_cmp_lt_u32_e32 vcc_lo, v12, v11
	v_cmp_gt_i32_e64 s1, v7, v14
	s_delay_alu instid0(VALU_DEP_3) | instskip(SKIP_1) | instid1(SALU_CYCLE_1)
	v_cmp_le_i32_e64 s0, v6, v1
	s_or_b32 s0, s0, vcc_lo
	s_and_b32 vcc_lo, s1, s0
	v_cndmask_b32_e32 v1, v1, v14, vcc_lo
	s_delay_alu instid0(VALU_DEP_1) | instskip(SKIP_2) | instid1(VALU_DEP_1)
	v_lshl_add_u32 v1, v1, 2, v8
	ds_load_b32 v6, v1
	v_mov_b32_e32 v1, 0
	v_add_nc_u64_e32 v[2:3], v[2:3], v[0:1]
	v_add_nc_u64_e32 v[0:1], v[4:5], v[0:1]
	v_cndmask_b32_e32 v4, v11, v12, vcc_lo
	global_store_b32 v[2:3], v4, off
	s_wait_dscnt 0x0
	global_store_b32 v[0:1], v6, off
.LBB21_10:
	s_endpgm
	.section	.rodata,"a",@progbits
	.p2align	6, 0x0
	.amdhsa_kernel _Z26sort_keys_values_segmentedILj256ELj2ELj1ELb0EjiN10test_utils4lessEEvPT3_PT4_PKjT5_
		.amdhsa_group_segment_fixed_size 1536
		.amdhsa_private_segment_fixed_size 0
		.amdhsa_kernarg_size 28
		.amdhsa_user_sgpr_count 2
		.amdhsa_user_sgpr_dispatch_ptr 0
		.amdhsa_user_sgpr_queue_ptr 0
		.amdhsa_user_sgpr_kernarg_segment_ptr 1
		.amdhsa_user_sgpr_dispatch_id 0
		.amdhsa_user_sgpr_kernarg_preload_length 0
		.amdhsa_user_sgpr_kernarg_preload_offset 0
		.amdhsa_user_sgpr_private_segment_size 0
		.amdhsa_wavefront_size32 1
		.amdhsa_uses_dynamic_stack 0
		.amdhsa_enable_private_segment 0
		.amdhsa_system_sgpr_workgroup_id_x 1
		.amdhsa_system_sgpr_workgroup_id_y 0
		.amdhsa_system_sgpr_workgroup_id_z 0
		.amdhsa_system_sgpr_workgroup_info 0
		.amdhsa_system_vgpr_workitem_id 0
		.amdhsa_next_free_vgpr 20
		.amdhsa_next_free_sgpr 7
		.amdhsa_named_barrier_count 0
		.amdhsa_reserve_vcc 1
		.amdhsa_float_round_mode_32 0
		.amdhsa_float_round_mode_16_64 0
		.amdhsa_float_denorm_mode_32 3
		.amdhsa_float_denorm_mode_16_64 3
		.amdhsa_fp16_overflow 0
		.amdhsa_memory_ordered 1
		.amdhsa_forward_progress 1
		.amdhsa_inst_pref_size 6
		.amdhsa_round_robin_scheduling 0
		.amdhsa_exception_fp_ieee_invalid_op 0
		.amdhsa_exception_fp_denorm_src 0
		.amdhsa_exception_fp_ieee_div_zero 0
		.amdhsa_exception_fp_ieee_overflow 0
		.amdhsa_exception_fp_ieee_underflow 0
		.amdhsa_exception_fp_ieee_inexact 0
		.amdhsa_exception_int_div_zero 0
	.end_amdhsa_kernel
	.section	.text._Z26sort_keys_values_segmentedILj256ELj2ELj1ELb0EjiN10test_utils4lessEEvPT3_PT4_PKjT5_,"axG",@progbits,_Z26sort_keys_values_segmentedILj256ELj2ELj1ELb0EjiN10test_utils4lessEEvPT3_PT4_PKjT5_,comdat
.Lfunc_end21:
	.size	_Z26sort_keys_values_segmentedILj256ELj2ELj1ELb0EjiN10test_utils4lessEEvPT3_PT4_PKjT5_, .Lfunc_end21-_Z26sort_keys_values_segmentedILj256ELj2ELj1ELb0EjiN10test_utils4lessEEvPT3_PT4_PKjT5_
                                        ; -- End function
	.set _Z26sort_keys_values_segmentedILj256ELj2ELj1ELb0EjiN10test_utils4lessEEvPT3_PT4_PKjT5_.num_vgpr, 20
	.set _Z26sort_keys_values_segmentedILj256ELj2ELj1ELb0EjiN10test_utils4lessEEvPT3_PT4_PKjT5_.num_agpr, 0
	.set _Z26sort_keys_values_segmentedILj256ELj2ELj1ELb0EjiN10test_utils4lessEEvPT3_PT4_PKjT5_.numbered_sgpr, 7
	.set _Z26sort_keys_values_segmentedILj256ELj2ELj1ELb0EjiN10test_utils4lessEEvPT3_PT4_PKjT5_.num_named_barrier, 0
	.set _Z26sort_keys_values_segmentedILj256ELj2ELj1ELb0EjiN10test_utils4lessEEvPT3_PT4_PKjT5_.private_seg_size, 0
	.set _Z26sort_keys_values_segmentedILj256ELj2ELj1ELb0EjiN10test_utils4lessEEvPT3_PT4_PKjT5_.uses_vcc, 1
	.set _Z26sort_keys_values_segmentedILj256ELj2ELj1ELb0EjiN10test_utils4lessEEvPT3_PT4_PKjT5_.uses_flat_scratch, 0
	.set _Z26sort_keys_values_segmentedILj256ELj2ELj1ELb0EjiN10test_utils4lessEEvPT3_PT4_PKjT5_.has_dyn_sized_stack, 0
	.set _Z26sort_keys_values_segmentedILj256ELj2ELj1ELb0EjiN10test_utils4lessEEvPT3_PT4_PKjT5_.has_recursion, 0
	.set _Z26sort_keys_values_segmentedILj256ELj2ELj1ELb0EjiN10test_utils4lessEEvPT3_PT4_PKjT5_.has_indirect_call, 0
	.section	.AMDGPU.csdata,"",@progbits
; Kernel info:
; codeLenInByte = 684
; TotalNumSgprs: 9
; NumVgprs: 20
; ScratchSize: 0
; MemoryBound: 0
; FloatMode: 240
; IeeeMode: 1
; LDSByteSize: 1536 bytes/workgroup (compile time only)
; SGPRBlocks: 0
; VGPRBlocks: 1
; NumSGPRsForWavesPerEU: 9
; NumVGPRsForWavesPerEU: 20
; NamedBarCnt: 0
; Occupancy: 16
; WaveLimiterHint : 0
; COMPUTE_PGM_RSRC2:SCRATCH_EN: 0
; COMPUTE_PGM_RSRC2:USER_SGPR: 2
; COMPUTE_PGM_RSRC2:TRAP_HANDLER: 0
; COMPUTE_PGM_RSRC2:TGID_X_EN: 1
; COMPUTE_PGM_RSRC2:TGID_Y_EN: 0
; COMPUTE_PGM_RSRC2:TGID_Z_EN: 0
; COMPUTE_PGM_RSRC2:TIDIG_COMP_CNT: 0
	.section	.text._Z14sort_keys_fullILj256ELj32ELj7ELb0EiN10test_utils7greaterEEvPT3_T4_,"axG",@progbits,_Z14sort_keys_fullILj256ELj32ELj7ELb0EiN10test_utils7greaterEEvPT3_T4_,comdat
	.protected	_Z14sort_keys_fullILj256ELj32ELj7ELb0EiN10test_utils7greaterEEvPT3_T4_ ; -- Begin function _Z14sort_keys_fullILj256ELj32ELj7ELb0EiN10test_utils7greaterEEvPT3_T4_
	.globl	_Z14sort_keys_fullILj256ELj32ELj7ELb0EiN10test_utils7greaterEEvPT3_T4_
	.p2align	8
	.type	_Z14sort_keys_fullILj256ELj32ELj7ELb0EiN10test_utils7greaterEEvPT3_T4_,@function
_Z14sort_keys_fullILj256ELj32ELj7ELb0EiN10test_utils7greaterEEvPT3_T4_: ; @_Z14sort_keys_fullILj256ELj32ELj7ELb0EiN10test_utils7greaterEEvPT3_T4_
; %bb.0:
	s_load_b64 s[0:1], s[0:1], 0x0
	s_bfe_u32 s2, ttmp6, 0x4000c
	s_and_b32 s3, ttmp6, 15
	s_add_co_i32 s2, s2, 1
	s_getreg_b32 s4, hwreg(HW_REG_IB_STS2, 6, 4)
	s_mul_i32 s2, ttmp9, s2
	v_mul_u32_u24_e32 v1, 7, v0
	s_add_co_i32 s3, s3, s2
	s_cmp_eq_u32 s4, 0
	s_mov_b32 s7, 0
	s_cselect_b32 s2, ttmp9, s3
	v_lshlrev_b32_e32 v2, 2, v1
	s_mul_i32 s6, s2, 0x700
	v_mbcnt_lo_u32_b32 v1, -1, 0
	s_lshl_b64 s[2:3], s[6:7], 2
	s_delay_alu instid0(VALU_DEP_1)
	v_dual_lshrrev_b32 v0, 5, v0 :: v_dual_bitop2_b32 v3, 30, v1 bitop3:0x40
	v_mul_u32_u24_e32 v6, 7, v1
	s_wait_kmcnt 0x0
	s_add_nc_u64 s[4:5], s[0:1], s[2:3]
	v_and_b32_e32 v4, 1, v1
	s_clause 0x1
	global_load_b128 v[14:17], v2, s[4:5]
	global_load_b96 v[18:20], v2, s[4:5] offset:16
	v_mul_u32_u24_e32 v12, 7, v3
	v_dual_mov_b32 v3, 0 :: v_dual_lshlrev_b32 v5, 2, v6
	v_cmp_eq_u32_e32 vcc_lo, 1, v4
	s_delay_alu instid0(VALU_DEP_2) | instskip(NEXT) | instid1(VALU_DEP_3)
	v_dual_mov_b32 v13, v3 :: v_dual_lshlrev_b32 v8, 2, v12
	v_mad_u32_u24 v7, 0x384, v0, v5
	; wave barrier
	s_delay_alu instid0(VALU_DEP_2)
	v_mad_u32_u24 v8, 0x384, v0, v8
	s_wait_loadcnt 0x1
	v_cmp_gt_i32_e64 s0, v15, v14
	v_cmp_gt_i32_e64 s1, v17, v16
	v_min_i32_e32 v9, v15, v14
	v_max_i32_e32 v21, v17, v16
	s_wait_loadcnt 0x0
	v_cmp_gt_i32_e64 s2, v19, v18
	v_dual_cndmask_b32 v4, v14, v15, s0 :: v_dual_min_i32 v23, v19, v18
	v_dual_cndmask_b32 v10, v17, v16, s1 :: v_dual_max_i32 v5, v15, v14
	s_delay_alu instid0(VALU_DEP_3)
	v_dual_cndmask_b32 v22, v19, v18, s2 :: v_dual_min_i32 v11, v17, v16
	v_max_i32_e32 v24, v19, v18
	v_dual_cndmask_b32 v14, v15, v14, s0 :: v_dual_cndmask_b32 v15, v16, v17, s1
	v_cndmask_b32_e64 v16, v18, v19, s2
	v_cmp_gt_i32_e64 s0, v21, v9
	v_cmp_gt_i32_e64 s2, v20, v23
	v_min_i32_e32 v17, v21, v9
	v_max_i32_e32 v18, v21, v9
	v_cmp_gt_i32_e64 s1, v24, v11
	v_dual_cndmask_b32 v14, v14, v21, s0 :: v_dual_min_i32 v19, v24, v11
	v_max_i32_e32 v25, v24, v11
	v_dual_cndmask_b32 v26, v20, v23, s2 :: v_dual_min_i32 v27, v20, v23
	v_cmp_gt_i32_e64 s3, v21, v5
	v_dual_cndmask_b32 v9, v15, v9, s0 :: v_dual_max_i32 v23, v20, v23
	v_dual_cndmask_b32 v11, v16, v11, s1 :: v_dual_cndmask_b32 v10, v10, v24, s1
	s_delay_alu instid0(VALU_DEP_3)
	v_dual_cndmask_b32 v15, v22, v20, s2 :: v_dual_cndmask_b32 v4, v4, v18, s3
	v_min_i32_e32 v20, v25, v17
	v_dual_cndmask_b32 v16, v5, v18, s3 :: v_dual_cndmask_b32 v18, v18, v5, s3
	v_cmp_gt_i32_e64 s0, v25, v17
	v_max_i32_e32 v21, v25, v17
	v_cmp_gt_i32_e64 s1, v23, v19
	v_dual_cndmask_b32 v5, v14, v5, s3 :: v_dual_min_i32 v22, v23, v19
	s_delay_alu instid0(VALU_DEP_4) | instskip(SKIP_1) | instid1(VALU_DEP_4)
	v_dual_cndmask_b32 v9, v9, v25, s0 :: v_dual_max_i32 v24, v23, v19
	v_cmp_lt_i32_e64 s2, v19, v27
	v_dual_cndmask_b32 v10, v10, v17, s0 :: v_dual_cndmask_b32 v14, v15, v19, s1
	v_dual_cndmask_b32 v11, v11, v23, s1 :: v_dual_min_i32 v15, v21, v18
	v_max_i32_e32 v17, v21, v18
	v_cmp_gt_i32_e64 s0, v21, v18
	v_cmp_gt_i32_e64 s1, v24, v20
	v_dual_cndmask_b32 v25, v26, v22, s2 :: v_dual_min_i32 v19, v24, v20
	v_dual_cndmask_b32 v26, v27, v22, s2 :: v_dual_max_i32 v23, v24, v20
	s_delay_alu instid0(VALU_DEP_4) | instskip(NEXT) | instid1(VALU_DEP_4)
	v_dual_cndmask_b32 v22, v22, v27, s2 :: v_dual_cndmask_b32 v9, v9, v18, s0
	v_dual_cndmask_b32 v5, v5, v21, s0 :: v_dual_cndmask_b32 v11, v11, v20, s1
	v_dual_cndmask_b32 v14, v14, v27, s2 :: v_dual_max_i32 v18, v17, v16
	v_cmp_gt_i32_e64 s0, v17, v16
	v_cndmask_b32_e64 v10, v10, v24, s1
	v_cmp_gt_i32_e64 s2, v22, v19
	v_min_i32_e32 v24, v22, v19
	v_cmp_gt_i32_e64 s1, v23, v15
	v_dual_cndmask_b32 v4, v4, v17, s0 :: v_dual_min_i32 v17, v17, v16
	s_delay_alu instid0(VALU_DEP_4) | instskip(NEXT) | instid1(VALU_DEP_4)
	v_dual_cndmask_b32 v14, v14, v19, s2 :: v_dual_cndmask_b32 v11, v11, v22, s2
	v_cmp_gt_i32_e64 s2, v26, v24
	v_max_i32_e32 v21, v23, v15
	v_dual_cndmask_b32 v5, v5, v16, s0 :: v_dual_min_i32 v20, v23, v15
	v_cndmask_b32_e64 v10, v10, v15, s1
	v_cndmask_b32_e64 v9, v9, v23, s1
	;; [unrolled: 1-line block ×3, first 2 shown]
	v_cmp_gt_i32_e64 s0, v21, v17
	v_max_i32_e32 v27, v22, v19
	v_min_i32_e32 v15, v21, v17
	v_cmp_gt_i32_e64 s3, v21, v18
	s_delay_alu instid0(VALU_DEP_4) | instskip(NEXT) | instid1(VALU_DEP_4)
	v_cndmask_b32_e64 v9, v9, v17, s0
	v_cmp_gt_i32_e64 s1, v27, v20
	v_dual_cndmask_b32 v5, v5, v21, s0 :: v_dual_max_i32 v22, v27, v20
	v_min_i32_e32 v19, v27, v20
	v_max_i32_e32 v24, v26, v24
	s_delay_alu instid0(VALU_DEP_4)
	v_dual_cndmask_b32 v11, v11, v20, s1 :: v_dual_max_i32 v16, v21, v17
	v_cndmask_b32_e64 v10, v10, v27, s1
	v_cmp_gt_i32_e64 s0, v22, v15
	v_cndmask_b32_e64 v5, v5, v18, s3
	v_cmp_gt_i32_e64 s1, v24, v19
	v_dual_cndmask_b32 v14, v14, v26, s2 :: v_dual_cndmask_b32 v4, v4, v16, s3
	s_delay_alu instid0(VALU_DEP_4) | instskip(NEXT) | instid1(VALU_DEP_2)
	v_dual_cndmask_b32 v10, v10, v15, s0 :: v_dual_cndmask_b32 v9, v9, v22, s0
	v_dual_cndmask_b32 v11, v11, v24, s1 :: v_dual_cndmask_b32 v14, v14, v19, s1
	ds_store_2addr_b32 v7, v4, v5 offset1:1
	ds_store_2addr_b32 v7, v9, v10 offset0:2 offset1:3
	ds_store_2addr_b32 v7, v11, v14 offset0:4 offset1:5
	ds_store_b32 v7, v23 offset:24
	; wave barrier
	s_and_saveexec_b32 s1, vcc_lo
	s_cbranch_execz .LBB22_4
; %bb.1:
	v_dual_mov_b32 v4, 7 :: v_dual_mov_b32 v13, v3
.LBB22_2:                               ; =>This Inner Loop Header: Depth=1
	s_delay_alu instid0(VALU_DEP_1) | instskip(NEXT) | instid1(VALU_DEP_1)
	v_sub_nc_u32_e32 v5, v4, v13
	v_lshrrev_b32_e32 v5, 1, v5
	s_delay_alu instid0(VALU_DEP_1) | instskip(NEXT) | instid1(VALU_DEP_1)
	v_add_nc_u32_e32 v5, v5, v13
	v_dual_lshlrev_b32 v9, 2, v5 :: v_dual_add_nc_u32 v11, 1, v5
	s_delay_alu instid0(VALU_DEP_1) | instskip(SKIP_4) | instid1(VALU_DEP_1)
	v_dual_add_nc_u32 v10, v8, v9 :: v_dual_sub_nc_u32 v9, v8, v9
	ds_load_b32 v10, v10
	ds_load_b32 v9, v9 offset:52
	s_wait_dscnt 0x0
	v_cmp_gt_i32_e64 s0, v9, v10
	v_cndmask_b32_e64 v4, v4, v5, s0
	v_cndmask_b32_e64 v13, v11, v13, s0
	s_delay_alu instid0(VALU_DEP_1) | instskip(SKIP_1) | instid1(SALU_CYCLE_1)
	v_cmp_ge_i32_e64 s0, v13, v4
	s_or_b32 s7, s0, s7
	s_and_not1_b32 exec_lo, exec_lo, s7
	s_cbranch_execnz .LBB22_2
; %bb.3:
	s_or_b32 exec_lo, exec_lo, s7
.LBB22_4:
	s_delay_alu instid0(SALU_CYCLE_1)
	s_or_b32 exec_lo, exec_lo, s1
	v_add_nc_u64_e32 v[4:5], s[4:5], v[2:3]
	v_cndmask_b32_e64 v2, 0, 7, vcc_lo
	v_mul_u32_u24_e32 v0, 0x384, v0
	v_lshl_add_u32 v11, v13, 2, v8
	v_cmp_lt_i32_e32 vcc_lo, 6, v13
	s_delay_alu instid0(VALU_DEP_4) | instskip(NEXT) | instid1(VALU_DEP_1)
	v_add_nc_u32_e32 v3, v12, v2
	v_sub_nc_u32_e32 v3, v3, v13
	s_delay_alu instid0(VALU_DEP_1) | instskip(SKIP_4) | instid1(VALU_DEP_1)
	v_lshl_add_u32 v15, v3, 2, v0
	v_add_nc_u32_e32 v3, 7, v12
	ds_load_b32 v8, v11
	ds_load_b32 v9, v15 offset:28
	v_dual_add_nc_u32 v10, v3, v2 :: v_dual_add_nc_u32 v2, 14, v12
	v_sub_nc_u32_e32 v14, v10, v13
                                        ; implicit-def: $vgpr10
	s_delay_alu instid0(VALU_DEP_1) | instskip(SKIP_3) | instid1(SALU_CYCLE_1)
	v_cmp_gt_i32_e64 s1, v2, v14
	s_wait_dscnt 0x0
	v_cmp_gt_i32_e64 s0, v9, v8
	s_or_b32 s0, vcc_lo, s0
	s_and_b32 vcc_lo, s1, s0
	s_delay_alu instid0(SALU_CYCLE_1) | instskip(NEXT) | instid1(SALU_CYCLE_1)
	s_xor_b32 s0, vcc_lo, -1
	s_and_saveexec_b32 s1, s0
	s_delay_alu instid0(SALU_CYCLE_1)
	s_xor_b32 s0, exec_lo, s1
; %bb.5:
	ds_load_b32 v10, v11 offset:4
                                        ; implicit-def: $vgpr15
; %bb.6:
	s_or_saveexec_b32 s0, s0
	v_mov_b32_e32 v11, v9
	s_xor_b32 exec_lo, exec_lo, s0
	s_cbranch_execz .LBB22_8
; %bb.7:
	ds_load_b32 v11, v15 offset:32
	s_wait_dscnt 0x1
	v_mov_b32_e32 v10, v8
.LBB22_8:
	s_or_b32 exec_lo, exec_lo, s0
	v_dual_add_nc_u32 v12, v13, v12 :: v_dual_add_nc_u32 v16, 1, v14
	s_wait_dscnt 0x0
	s_delay_alu instid0(VALU_DEP_2) | instskip(NEXT) | instid1(VALU_DEP_2)
	v_cmp_gt_i32_e64 s1, v11, v10
	v_add_nc_u32_e32 v13, 1, v12
	s_delay_alu instid0(VALU_DEP_3) | instskip(NEXT) | instid1(VALU_DEP_2)
	v_cndmask_b32_e32 v14, v14, v16, vcc_lo
	v_cndmask_b32_e32 v15, v13, v12, vcc_lo
	s_delay_alu instid0(VALU_DEP_2) | instskip(NEXT) | instid1(VALU_DEP_2)
	v_cmp_lt_i32_e64 s2, v14, v2
                                        ; implicit-def: $vgpr12
	v_cmp_ge_i32_e64 s0, v15, v3
	s_or_b32 s0, s0, s1
	s_delay_alu instid0(SALU_CYCLE_1) | instskip(NEXT) | instid1(SALU_CYCLE_1)
	s_and_b32 s0, s2, s0
	s_xor_b32 s1, s0, -1
	s_delay_alu instid0(SALU_CYCLE_1) | instskip(NEXT) | instid1(SALU_CYCLE_1)
	s_and_saveexec_b32 s2, s1
	s_xor_b32 s1, exec_lo, s2
; %bb.9:
	v_lshl_add_u32 v12, v15, 2, v0
	ds_load_b32 v12, v12 offset:4
; %bb.10:
	s_or_saveexec_b32 s1, s1
	v_mov_b32_e32 v13, v11
	s_xor_b32 exec_lo, exec_lo, s1
	s_cbranch_execz .LBB22_12
; %bb.11:
	s_wait_dscnt 0x0
	v_lshl_add_u32 v12, v14, 2, v0
	ds_load_b32 v13, v12 offset:4
	v_mov_b32_e32 v12, v10
.LBB22_12:
	s_or_b32 exec_lo, exec_lo, s1
	v_dual_add_nc_u32 v16, 1, v15 :: v_dual_add_nc_u32 v18, 1, v14
	s_wait_dscnt 0x0
	s_delay_alu instid0(VALU_DEP_2) | instskip(NEXT) | instid1(VALU_DEP_2)
	v_cmp_gt_i32_e64 s2, v13, v12
	v_dual_cndmask_b32 v17, v16, v15, s0 :: v_dual_cndmask_b32 v16, v14, v18, s0
                                        ; implicit-def: $vgpr14
	s_delay_alu instid0(VALU_DEP_1) | instskip(NEXT) | instid1(VALU_DEP_2)
	v_cmp_ge_i32_e64 s1, v17, v3
	v_cmp_lt_i32_e64 s3, v16, v2
	s_or_b32 s1, s1, s2
	s_delay_alu instid0(SALU_CYCLE_1) | instskip(NEXT) | instid1(SALU_CYCLE_1)
	s_and_b32 s1, s3, s1
	s_xor_b32 s2, s1, -1
	s_delay_alu instid0(SALU_CYCLE_1) | instskip(NEXT) | instid1(SALU_CYCLE_1)
	s_and_saveexec_b32 s3, s2
	s_xor_b32 s2, exec_lo, s3
; %bb.13:
	v_lshl_add_u32 v14, v17, 2, v0
	ds_load_b32 v14, v14 offset:4
; %bb.14:
	s_or_saveexec_b32 s2, s2
	v_mov_b32_e32 v15, v13
	s_xor_b32 exec_lo, exec_lo, s2
	s_cbranch_execz .LBB22_16
; %bb.15:
	s_wait_dscnt 0x0
	v_lshl_add_u32 v14, v16, 2, v0
	ds_load_b32 v15, v14 offset:4
	v_mov_b32_e32 v14, v12
.LBB22_16:
	s_or_b32 exec_lo, exec_lo, s2
	v_dual_add_nc_u32 v18, 1, v17 :: v_dual_add_nc_u32 v20, 1, v16
	s_wait_dscnt 0x0
	s_delay_alu instid0(VALU_DEP_2) | instskip(NEXT) | instid1(VALU_DEP_2)
	v_cmp_gt_i32_e64 s3, v15, v14
	v_dual_cndmask_b32 v19, v18, v17, s1 :: v_dual_cndmask_b32 v18, v16, v20, s1
                                        ; implicit-def: $vgpr16
	s_delay_alu instid0(VALU_DEP_1) | instskip(NEXT) | instid1(VALU_DEP_2)
	v_cmp_ge_i32_e64 s2, v19, v3
	v_cmp_lt_i32_e64 s4, v18, v2
	s_or_b32 s2, s2, s3
	s_delay_alu instid0(SALU_CYCLE_1) | instskip(NEXT) | instid1(SALU_CYCLE_1)
	s_and_b32 s2, s4, s2
	s_xor_b32 s3, s2, -1
	s_delay_alu instid0(SALU_CYCLE_1) | instskip(NEXT) | instid1(SALU_CYCLE_1)
	s_and_saveexec_b32 s4, s3
	s_xor_b32 s3, exec_lo, s4
; %bb.17:
	v_lshl_add_u32 v16, v19, 2, v0
	ds_load_b32 v16, v16 offset:4
; %bb.18:
	s_or_saveexec_b32 s3, s3
	v_mov_b32_e32 v17, v15
	s_xor_b32 exec_lo, exec_lo, s3
	s_cbranch_execz .LBB22_20
; %bb.19:
	s_wait_dscnt 0x0
	v_lshl_add_u32 v16, v18, 2, v0
	ds_load_b32 v17, v16 offset:4
	v_mov_b32_e32 v16, v14
.LBB22_20:
	s_or_b32 exec_lo, exec_lo, s3
	v_dual_add_nc_u32 v20, 1, v19 :: v_dual_add_nc_u32 v21, 1, v18
	s_wait_dscnt 0x0
	s_delay_alu instid0(VALU_DEP_2) | instskip(NEXT) | instid1(VALU_DEP_2)
	v_cmp_gt_i32_e64 s4, v17, v16
	v_dual_cndmask_b32 v20, v20, v19, s2 :: v_dual_cndmask_b32 v18, v18, v21, s2
                                        ; implicit-def: $vgpr19
	s_delay_alu instid0(VALU_DEP_1) | instskip(NEXT) | instid1(VALU_DEP_2)
	v_cmp_ge_i32_e64 s3, v20, v3
	v_cmp_lt_i32_e64 s5, v18, v2
	s_or_b32 s3, s3, s4
	s_delay_alu instid0(SALU_CYCLE_1) | instskip(NEXT) | instid1(SALU_CYCLE_1)
	s_and_b32 s3, s5, s3
	s_xor_b32 s4, s3, -1
	s_delay_alu instid0(SALU_CYCLE_1) | instskip(NEXT) | instid1(SALU_CYCLE_1)
	s_and_saveexec_b32 s5, s4
	s_xor_b32 s4, exec_lo, s5
; %bb.21:
	v_lshl_add_u32 v19, v20, 2, v0
	ds_load_b32 v19, v19 offset:4
; %bb.22:
	s_or_saveexec_b32 s4, s4
	v_mov_b32_e32 v21, v17
	s_xor_b32 exec_lo, exec_lo, s4
	s_cbranch_execz .LBB22_24
; %bb.23:
	s_wait_dscnt 0x0
	v_lshl_add_u32 v19, v18, 2, v0
	ds_load_b32 v21, v19 offset:4
	v_mov_b32_e32 v19, v16
.LBB22_24:
	s_or_b32 exec_lo, exec_lo, s4
	v_dual_add_nc_u32 v22, 1, v20 :: v_dual_add_nc_u32 v23, 1, v18
	s_wait_dscnt 0x0
	s_delay_alu instid0(VALU_DEP_2) | instskip(NEXT) | instid1(VALU_DEP_2)
	v_cmp_gt_i32_e64 s5, v21, v19
	v_cndmask_b32_e64 v22, v22, v20, s3
	s_delay_alu instid0(VALU_DEP_3) | instskip(NEXT) | instid1(VALU_DEP_2)
	v_cndmask_b32_e64 v23, v18, v23, s3
                                        ; implicit-def: $vgpr18
	v_cmp_ge_i32_e64 s4, v22, v3
	s_delay_alu instid0(VALU_DEP_2) | instskip(SKIP_1) | instid1(SALU_CYCLE_1)
	v_cmp_lt_i32_e64 s6, v23, v2
	s_or_b32 s4, s4, s5
	s_and_b32 s4, s6, s4
	s_delay_alu instid0(SALU_CYCLE_1) | instskip(NEXT) | instid1(SALU_CYCLE_1)
	s_xor_b32 s5, s4, -1
	s_and_saveexec_b32 s6, s5
	s_delay_alu instid0(SALU_CYCLE_1)
	s_xor_b32 s5, exec_lo, s6
; %bb.25:
	v_lshl_add_u32 v18, v22, 2, v0
	ds_load_b32 v18, v18 offset:4
; %bb.26:
	s_or_saveexec_b32 s5, s5
	v_mov_b32_e32 v20, v21
	s_xor_b32 exec_lo, exec_lo, s5
	s_cbranch_execz .LBB22_28
; %bb.27:
	s_wait_dscnt 0x0
	v_lshl_add_u32 v18, v23, 2, v0
	ds_load_b32 v20, v18 offset:4
	v_mov_b32_e32 v18, v19
.LBB22_28:
	s_or_b32 exec_lo, exec_lo, s5
	v_dual_add_nc_u32 v24, 1, v23 :: v_dual_add_nc_u32 v25, 1, v22
	v_cndmask_b32_e64 v19, v19, v21, s4
	v_dual_cndmask_b32 v16, v16, v17, s3 :: v_dual_cndmask_b32 v10, v10, v11, s0
	s_delay_alu instid0(VALU_DEP_3) | instskip(NEXT) | instid1(VALU_DEP_4)
	v_dual_cndmask_b32 v9, v8, v9, vcc_lo :: v_dual_cndmask_b32 v21, v25, v22, s4
	v_dual_cndmask_b32 v17, v23, v24, s4 :: v_dual_bitop2_b32 v8, 3, v1 bitop3:0x40
	s_wait_dscnt 0x0
	v_cmp_gt_i32_e64 s0, v20, v18
	v_dual_cndmask_b32 v14, v14, v15, s2 :: v_dual_cndmask_b32 v15, v12, v13, s1
	v_cmp_ge_i32_e32 vcc_lo, v21, v3
	v_cmp_lt_i32_e64 s1, v17, v2
	v_mad_u32_u24 v11, v8, 7, -14
	; wave barrier
	s_or_b32 s0, vcc_lo, s0
	v_cmp_lt_u32_e32 vcc_lo, 1, v8
	s_delay_alu instid0(VALU_DEP_2) | instskip(SKIP_1) | instid1(SALU_CYCLE_1)
	v_cndmask_b32_e32 v13, 0, v11, vcc_lo
	s_and_b32 vcc_lo, s1, s0
	v_dual_cndmask_b32 v11, v18, v20, vcc_lo :: v_dual_bitop2_b32 v3, 28, v1 bitop3:0x40
	v_mul_u32_u24_e32 v2, 7, v8
	s_mov_b32 s1, 0
	s_mov_b32 s0, exec_lo
	s_delay_alu instid0(VALU_DEP_2)
	v_mul_u32_u24_e32 v12, 7, v3
	ds_store_2addr_b32 v7, v9, v10 offset1:1
	ds_store_2addr_b32 v7, v15, v14 offset0:2 offset1:3
	ds_store_2addr_b32 v7, v16, v19 offset0:4 offset1:5
	ds_store_b32 v7, v11 offset:24
	v_min_u32_e32 v8, 14, v2
	; wave barrier
	v_lshl_add_u32 v3, v12, 2, v0
	s_delay_alu instid0(VALU_DEP_2)
	v_cmpx_lt_i32_e64 v13, v8
	s_cbranch_execz .LBB22_32
; %bb.29:
	s_delay_alu instid0(VALU_DEP_2)
	v_lshl_add_u32 v9, v2, 2, v3
.LBB22_30:                              ; =>This Inner Loop Header: Depth=1
	v_sub_nc_u32_e32 v10, v8, v13
	s_delay_alu instid0(VALU_DEP_1) | instskip(NEXT) | instid1(VALU_DEP_1)
	v_lshrrev_b32_e32 v10, 1, v10
	v_add_nc_u32_e32 v10, v10, v13
	s_delay_alu instid0(VALU_DEP_1) | instskip(SKIP_1) | instid1(VALU_DEP_2)
	v_not_b32_e32 v11, v10
	v_lshl_add_u32 v14, v10, 2, v3
	v_lshl_add_u32 v11, v11, 2, v9
	ds_load_b32 v14, v14
	ds_load_b32 v11, v11 offset:56
	s_wait_dscnt 0x0
	v_cmp_gt_i32_e32 vcc_lo, v11, v14
	v_dual_cndmask_b32 v8, v8, v10 :: v_dual_add_nc_u32 v15, 1, v10
	s_delay_alu instid0(VALU_DEP_1) | instskip(NEXT) | instid1(VALU_DEP_1)
	v_cndmask_b32_e32 v13, v15, v13, vcc_lo
	v_cmp_ge_i32_e32 vcc_lo, v13, v8
	s_or_b32 s1, vcc_lo, s1
	s_delay_alu instid0(SALU_CYCLE_1)
	s_and_not1_b32 exec_lo, exec_lo, s1
	s_cbranch_execnz .LBB22_30
; %bb.31:
	s_or_b32 exec_lo, exec_lo, s1
.LBB22_32:
	s_delay_alu instid0(SALU_CYCLE_1) | instskip(SKIP_4) | instid1(VALU_DEP_2)
	s_or_b32 exec_lo, exec_lo, s0
	v_add_nc_u32_e32 v8, v12, v2
	v_lshl_add_u32 v11, v13, 2, v3
	v_add_nc_u32_e32 v3, 14, v12
	v_cmp_lt_i32_e32 vcc_lo, 13, v13
	v_dual_sub_nc_u32 v8, v8, v13 :: v_dual_add_nc_u32 v10, v3, v2
	v_add_nc_u32_e32 v2, 28, v12
	s_delay_alu instid0(VALU_DEP_2) | instskip(SKIP_3) | instid1(VALU_DEP_1)
	v_lshl_add_u32 v15, v8, 2, v0
	ds_load_b32 v8, v11
	ds_load_b32 v9, v15 offset:56
	v_sub_nc_u32_e32 v14, v10, v13
                                        ; implicit-def: $vgpr10
	v_cmp_gt_i32_e64 s1, v2, v14
	s_wait_dscnt 0x0
	v_cmp_gt_i32_e64 s0, v9, v8
	s_or_b32 s0, vcc_lo, s0
	s_delay_alu instid0(SALU_CYCLE_1) | instskip(NEXT) | instid1(SALU_CYCLE_1)
	s_and_b32 vcc_lo, s1, s0
	s_xor_b32 s0, vcc_lo, -1
	s_delay_alu instid0(SALU_CYCLE_1) | instskip(NEXT) | instid1(SALU_CYCLE_1)
	s_and_saveexec_b32 s1, s0
	s_xor_b32 s0, exec_lo, s1
; %bb.33:
	ds_load_b32 v10, v11 offset:4
                                        ; implicit-def: $vgpr15
; %bb.34:
	s_or_saveexec_b32 s0, s0
	v_mov_b32_e32 v11, v9
	s_xor_b32 exec_lo, exec_lo, s0
	s_cbranch_execz .LBB22_36
; %bb.35:
	ds_load_b32 v11, v15 offset:60
	s_wait_dscnt 0x1
	v_mov_b32_e32 v10, v8
.LBB22_36:
	s_or_b32 exec_lo, exec_lo, s0
	v_dual_add_nc_u32 v12, v13, v12 :: v_dual_add_nc_u32 v16, 1, v14
	s_wait_dscnt 0x0
	s_delay_alu instid0(VALU_DEP_2) | instskip(NEXT) | instid1(VALU_DEP_2)
	v_cmp_gt_i32_e64 s1, v11, v10
	v_add_nc_u32_e32 v13, 1, v12
	s_delay_alu instid0(VALU_DEP_3) | instskip(NEXT) | instid1(VALU_DEP_2)
	v_cndmask_b32_e32 v14, v14, v16, vcc_lo
	v_cndmask_b32_e32 v15, v13, v12, vcc_lo
	s_delay_alu instid0(VALU_DEP_2) | instskip(NEXT) | instid1(VALU_DEP_2)
	v_cmp_lt_i32_e64 s2, v14, v2
                                        ; implicit-def: $vgpr12
	v_cmp_ge_i32_e64 s0, v15, v3
	s_or_b32 s0, s0, s1
	s_delay_alu instid0(SALU_CYCLE_1) | instskip(NEXT) | instid1(SALU_CYCLE_1)
	s_and_b32 s0, s2, s0
	s_xor_b32 s1, s0, -1
	s_delay_alu instid0(SALU_CYCLE_1) | instskip(NEXT) | instid1(SALU_CYCLE_1)
	s_and_saveexec_b32 s2, s1
	s_xor_b32 s1, exec_lo, s2
; %bb.37:
	v_lshl_add_u32 v12, v15, 2, v0
	ds_load_b32 v12, v12 offset:4
; %bb.38:
	s_or_saveexec_b32 s1, s1
	v_mov_b32_e32 v13, v11
	s_xor_b32 exec_lo, exec_lo, s1
	s_cbranch_execz .LBB22_40
; %bb.39:
	s_wait_dscnt 0x0
	v_lshl_add_u32 v12, v14, 2, v0
	ds_load_b32 v13, v12 offset:4
	v_mov_b32_e32 v12, v10
.LBB22_40:
	s_or_b32 exec_lo, exec_lo, s1
	v_dual_add_nc_u32 v16, 1, v15 :: v_dual_add_nc_u32 v18, 1, v14
	s_wait_dscnt 0x0
	s_delay_alu instid0(VALU_DEP_2) | instskip(NEXT) | instid1(VALU_DEP_2)
	v_cmp_gt_i32_e64 s2, v13, v12
	v_dual_cndmask_b32 v17, v16, v15, s0 :: v_dual_cndmask_b32 v16, v14, v18, s0
                                        ; implicit-def: $vgpr14
	s_delay_alu instid0(VALU_DEP_1) | instskip(NEXT) | instid1(VALU_DEP_2)
	v_cmp_ge_i32_e64 s1, v17, v3
	v_cmp_lt_i32_e64 s3, v16, v2
	s_or_b32 s1, s1, s2
	s_delay_alu instid0(SALU_CYCLE_1) | instskip(NEXT) | instid1(SALU_CYCLE_1)
	s_and_b32 s1, s3, s1
	s_xor_b32 s2, s1, -1
	s_delay_alu instid0(SALU_CYCLE_1) | instskip(NEXT) | instid1(SALU_CYCLE_1)
	s_and_saveexec_b32 s3, s2
	s_xor_b32 s2, exec_lo, s3
; %bb.41:
	v_lshl_add_u32 v14, v17, 2, v0
	ds_load_b32 v14, v14 offset:4
; %bb.42:
	s_or_saveexec_b32 s2, s2
	v_mov_b32_e32 v15, v13
	s_xor_b32 exec_lo, exec_lo, s2
	s_cbranch_execz .LBB22_44
; %bb.43:
	s_wait_dscnt 0x0
	v_lshl_add_u32 v14, v16, 2, v0
	ds_load_b32 v15, v14 offset:4
	v_mov_b32_e32 v14, v12
.LBB22_44:
	s_or_b32 exec_lo, exec_lo, s2
	v_dual_add_nc_u32 v18, 1, v17 :: v_dual_add_nc_u32 v20, 1, v16
	s_wait_dscnt 0x0
	s_delay_alu instid0(VALU_DEP_2) | instskip(NEXT) | instid1(VALU_DEP_2)
	v_cmp_gt_i32_e64 s3, v15, v14
	v_dual_cndmask_b32 v19, v18, v17, s1 :: v_dual_cndmask_b32 v18, v16, v20, s1
                                        ; implicit-def: $vgpr16
	s_delay_alu instid0(VALU_DEP_1) | instskip(NEXT) | instid1(VALU_DEP_2)
	v_cmp_ge_i32_e64 s2, v19, v3
	v_cmp_lt_i32_e64 s4, v18, v2
	s_or_b32 s2, s2, s3
	s_delay_alu instid0(SALU_CYCLE_1) | instskip(NEXT) | instid1(SALU_CYCLE_1)
	s_and_b32 s2, s4, s2
	s_xor_b32 s3, s2, -1
	s_delay_alu instid0(SALU_CYCLE_1) | instskip(NEXT) | instid1(SALU_CYCLE_1)
	s_and_saveexec_b32 s4, s3
	s_xor_b32 s3, exec_lo, s4
; %bb.45:
	v_lshl_add_u32 v16, v19, 2, v0
	ds_load_b32 v16, v16 offset:4
; %bb.46:
	s_or_saveexec_b32 s3, s3
	v_mov_b32_e32 v17, v15
	s_xor_b32 exec_lo, exec_lo, s3
	s_cbranch_execz .LBB22_48
; %bb.47:
	s_wait_dscnt 0x0
	v_lshl_add_u32 v16, v18, 2, v0
	ds_load_b32 v17, v16 offset:4
	v_mov_b32_e32 v16, v14
.LBB22_48:
	s_or_b32 exec_lo, exec_lo, s3
	v_dual_add_nc_u32 v20, 1, v19 :: v_dual_add_nc_u32 v21, 1, v18
	s_wait_dscnt 0x0
	s_delay_alu instid0(VALU_DEP_2) | instskip(NEXT) | instid1(VALU_DEP_2)
	v_cmp_gt_i32_e64 s4, v17, v16
	v_dual_cndmask_b32 v20, v20, v19, s2 :: v_dual_cndmask_b32 v18, v18, v21, s2
                                        ; implicit-def: $vgpr19
	s_delay_alu instid0(VALU_DEP_1) | instskip(NEXT) | instid1(VALU_DEP_2)
	v_cmp_ge_i32_e64 s3, v20, v3
	v_cmp_lt_i32_e64 s5, v18, v2
	s_or_b32 s3, s3, s4
	s_delay_alu instid0(SALU_CYCLE_1) | instskip(NEXT) | instid1(SALU_CYCLE_1)
	s_and_b32 s3, s5, s3
	s_xor_b32 s4, s3, -1
	s_delay_alu instid0(SALU_CYCLE_1) | instskip(NEXT) | instid1(SALU_CYCLE_1)
	s_and_saveexec_b32 s5, s4
	s_xor_b32 s4, exec_lo, s5
; %bb.49:
	v_lshl_add_u32 v19, v20, 2, v0
	ds_load_b32 v19, v19 offset:4
; %bb.50:
	s_or_saveexec_b32 s4, s4
	v_mov_b32_e32 v21, v17
	s_xor_b32 exec_lo, exec_lo, s4
	s_cbranch_execz .LBB22_52
; %bb.51:
	s_wait_dscnt 0x0
	v_lshl_add_u32 v19, v18, 2, v0
	ds_load_b32 v21, v19 offset:4
	v_mov_b32_e32 v19, v16
.LBB22_52:
	s_or_b32 exec_lo, exec_lo, s4
	v_dual_add_nc_u32 v22, 1, v20 :: v_dual_add_nc_u32 v23, 1, v18
	s_wait_dscnt 0x0
	s_delay_alu instid0(VALU_DEP_2) | instskip(NEXT) | instid1(VALU_DEP_2)
	v_cmp_gt_i32_e64 s5, v21, v19
	v_cndmask_b32_e64 v22, v22, v20, s3
	s_delay_alu instid0(VALU_DEP_3) | instskip(NEXT) | instid1(VALU_DEP_2)
	v_cndmask_b32_e64 v23, v18, v23, s3
                                        ; implicit-def: $vgpr18
	v_cmp_ge_i32_e64 s4, v22, v3
	s_delay_alu instid0(VALU_DEP_2) | instskip(SKIP_1) | instid1(SALU_CYCLE_1)
	v_cmp_lt_i32_e64 s6, v23, v2
	s_or_b32 s4, s4, s5
	s_and_b32 s4, s6, s4
	s_delay_alu instid0(SALU_CYCLE_1) | instskip(NEXT) | instid1(SALU_CYCLE_1)
	s_xor_b32 s5, s4, -1
	s_and_saveexec_b32 s6, s5
	s_delay_alu instid0(SALU_CYCLE_1)
	s_xor_b32 s5, exec_lo, s6
; %bb.53:
	v_lshl_add_u32 v18, v22, 2, v0
	ds_load_b32 v18, v18 offset:4
; %bb.54:
	s_or_saveexec_b32 s5, s5
	v_mov_b32_e32 v20, v21
	s_xor_b32 exec_lo, exec_lo, s5
	s_cbranch_execz .LBB22_56
; %bb.55:
	s_wait_dscnt 0x0
	v_lshl_add_u32 v18, v23, 2, v0
	ds_load_b32 v20, v18 offset:4
	v_mov_b32_e32 v18, v19
.LBB22_56:
	s_or_b32 exec_lo, exec_lo, s5
	v_dual_add_nc_u32 v24, 1, v23 :: v_dual_add_nc_u32 v25, 1, v22
	v_cndmask_b32_e64 v19, v19, v21, s4
	v_dual_cndmask_b32 v16, v16, v17, s3 :: v_dual_cndmask_b32 v10, v10, v11, s0
	s_delay_alu instid0(VALU_DEP_3) | instskip(NEXT) | instid1(VALU_DEP_4)
	v_dual_cndmask_b32 v9, v8, v9, vcc_lo :: v_dual_cndmask_b32 v21, v25, v22, s4
	v_dual_cndmask_b32 v17, v23, v24, s4 :: v_dual_bitop2_b32 v8, 7, v1 bitop3:0x40
	s_wait_dscnt 0x0
	v_cmp_gt_i32_e64 s0, v20, v18
	v_dual_cndmask_b32 v14, v14, v15, s2 :: v_dual_cndmask_b32 v15, v12, v13, s1
	v_cmp_ge_i32_e32 vcc_lo, v21, v3
	v_cmp_lt_i32_e64 s1, v17, v2
	v_mad_u32_u24 v11, v8, 7, 0xffffffe4
	; wave barrier
	s_or_b32 s0, vcc_lo, s0
	v_cmp_lt_u32_e32 vcc_lo, 3, v8
	s_delay_alu instid0(VALU_DEP_2) | instskip(SKIP_1) | instid1(SALU_CYCLE_1)
	v_cndmask_b32_e32 v13, 0, v11, vcc_lo
	s_and_b32 vcc_lo, s1, s0
	v_dual_cndmask_b32 v11, v18, v20, vcc_lo :: v_dual_bitop2_b32 v3, 24, v1 bitop3:0x40
	v_mul_u32_u24_e32 v2, 7, v8
	s_mov_b32 s1, 0
	s_mov_b32 s0, exec_lo
	s_delay_alu instid0(VALU_DEP_2)
	v_mul_u32_u24_e32 v12, 7, v3
	ds_store_2addr_b32 v7, v9, v10 offset1:1
	ds_store_2addr_b32 v7, v15, v14 offset0:2 offset1:3
	ds_store_2addr_b32 v7, v16, v19 offset0:4 offset1:5
	ds_store_b32 v7, v11 offset:24
	v_min_u32_e32 v8, 28, v2
	; wave barrier
	v_lshl_add_u32 v3, v12, 2, v0
	s_delay_alu instid0(VALU_DEP_2)
	v_cmpx_lt_i32_e64 v13, v8
	s_cbranch_execz .LBB22_60
; %bb.57:
	s_delay_alu instid0(VALU_DEP_2)
	v_lshl_add_u32 v9, v2, 2, v3
.LBB22_58:                              ; =>This Inner Loop Header: Depth=1
	v_sub_nc_u32_e32 v10, v8, v13
	s_delay_alu instid0(VALU_DEP_1) | instskip(NEXT) | instid1(VALU_DEP_1)
	v_lshrrev_b32_e32 v10, 1, v10
	v_add_nc_u32_e32 v10, v10, v13
	s_delay_alu instid0(VALU_DEP_1) | instskip(SKIP_1) | instid1(VALU_DEP_2)
	v_not_b32_e32 v11, v10
	v_lshl_add_u32 v14, v10, 2, v3
	v_lshl_add_u32 v11, v11, 2, v9
	ds_load_b32 v14, v14
	ds_load_b32 v11, v11 offset:112
	s_wait_dscnt 0x0
	v_cmp_gt_i32_e32 vcc_lo, v11, v14
	v_dual_cndmask_b32 v8, v8, v10 :: v_dual_add_nc_u32 v15, 1, v10
	s_delay_alu instid0(VALU_DEP_1) | instskip(NEXT) | instid1(VALU_DEP_1)
	v_cndmask_b32_e32 v13, v15, v13, vcc_lo
	v_cmp_ge_i32_e32 vcc_lo, v13, v8
	s_or_b32 s1, vcc_lo, s1
	s_delay_alu instid0(SALU_CYCLE_1)
	s_and_not1_b32 exec_lo, exec_lo, s1
	s_cbranch_execnz .LBB22_58
; %bb.59:
	s_or_b32 exec_lo, exec_lo, s1
.LBB22_60:
	s_delay_alu instid0(SALU_CYCLE_1) | instskip(SKIP_4) | instid1(VALU_DEP_2)
	s_or_b32 exec_lo, exec_lo, s0
	v_add_nc_u32_e32 v8, v12, v2
	v_lshl_add_u32 v11, v13, 2, v3
	v_add_nc_u32_e32 v3, 28, v12
	v_cmp_lt_i32_e32 vcc_lo, 27, v13
	v_dual_sub_nc_u32 v8, v8, v13 :: v_dual_add_nc_u32 v10, v3, v2
	v_add_nc_u32_e32 v2, 56, v12
	s_delay_alu instid0(VALU_DEP_2) | instskip(SKIP_3) | instid1(VALU_DEP_1)
	v_lshl_add_u32 v15, v8, 2, v0
	ds_load_b32 v8, v11
	ds_load_b32 v9, v15 offset:112
	v_sub_nc_u32_e32 v14, v10, v13
                                        ; implicit-def: $vgpr10
	v_cmp_gt_i32_e64 s1, v2, v14
	s_wait_dscnt 0x0
	v_cmp_gt_i32_e64 s0, v9, v8
	s_or_b32 s0, vcc_lo, s0
	s_delay_alu instid0(SALU_CYCLE_1) | instskip(NEXT) | instid1(SALU_CYCLE_1)
	s_and_b32 vcc_lo, s1, s0
	s_xor_b32 s0, vcc_lo, -1
	s_delay_alu instid0(SALU_CYCLE_1) | instskip(NEXT) | instid1(SALU_CYCLE_1)
	s_and_saveexec_b32 s1, s0
	s_xor_b32 s0, exec_lo, s1
; %bb.61:
	ds_load_b32 v10, v11 offset:4
                                        ; implicit-def: $vgpr15
; %bb.62:
	s_or_saveexec_b32 s0, s0
	v_mov_b32_e32 v11, v9
	s_xor_b32 exec_lo, exec_lo, s0
	s_cbranch_execz .LBB22_64
; %bb.63:
	ds_load_b32 v11, v15 offset:116
	s_wait_dscnt 0x1
	v_mov_b32_e32 v10, v8
.LBB22_64:
	s_or_b32 exec_lo, exec_lo, s0
	v_dual_add_nc_u32 v12, v13, v12 :: v_dual_add_nc_u32 v16, 1, v14
	s_wait_dscnt 0x0
	s_delay_alu instid0(VALU_DEP_2) | instskip(NEXT) | instid1(VALU_DEP_2)
	v_cmp_gt_i32_e64 s1, v11, v10
	v_add_nc_u32_e32 v13, 1, v12
	s_delay_alu instid0(VALU_DEP_3) | instskip(NEXT) | instid1(VALU_DEP_2)
	v_cndmask_b32_e32 v14, v14, v16, vcc_lo
	v_cndmask_b32_e32 v15, v13, v12, vcc_lo
	s_delay_alu instid0(VALU_DEP_2) | instskip(NEXT) | instid1(VALU_DEP_2)
	v_cmp_lt_i32_e64 s2, v14, v2
                                        ; implicit-def: $vgpr12
	v_cmp_ge_i32_e64 s0, v15, v3
	s_or_b32 s0, s0, s1
	s_delay_alu instid0(SALU_CYCLE_1) | instskip(NEXT) | instid1(SALU_CYCLE_1)
	s_and_b32 s0, s2, s0
	s_xor_b32 s1, s0, -1
	s_delay_alu instid0(SALU_CYCLE_1) | instskip(NEXT) | instid1(SALU_CYCLE_1)
	s_and_saveexec_b32 s2, s1
	s_xor_b32 s1, exec_lo, s2
; %bb.65:
	v_lshl_add_u32 v12, v15, 2, v0
	ds_load_b32 v12, v12 offset:4
; %bb.66:
	s_or_saveexec_b32 s1, s1
	v_mov_b32_e32 v13, v11
	s_xor_b32 exec_lo, exec_lo, s1
	s_cbranch_execz .LBB22_68
; %bb.67:
	s_wait_dscnt 0x0
	v_lshl_add_u32 v12, v14, 2, v0
	ds_load_b32 v13, v12 offset:4
	v_mov_b32_e32 v12, v10
.LBB22_68:
	s_or_b32 exec_lo, exec_lo, s1
	v_dual_add_nc_u32 v16, 1, v15 :: v_dual_add_nc_u32 v18, 1, v14
	s_wait_dscnt 0x0
	s_delay_alu instid0(VALU_DEP_2) | instskip(NEXT) | instid1(VALU_DEP_2)
	v_cmp_gt_i32_e64 s2, v13, v12
	v_dual_cndmask_b32 v17, v16, v15, s0 :: v_dual_cndmask_b32 v16, v14, v18, s0
                                        ; implicit-def: $vgpr14
	s_delay_alu instid0(VALU_DEP_1) | instskip(NEXT) | instid1(VALU_DEP_2)
	v_cmp_ge_i32_e64 s1, v17, v3
	v_cmp_lt_i32_e64 s3, v16, v2
	s_or_b32 s1, s1, s2
	s_delay_alu instid0(SALU_CYCLE_1) | instskip(NEXT) | instid1(SALU_CYCLE_1)
	s_and_b32 s1, s3, s1
	s_xor_b32 s2, s1, -1
	s_delay_alu instid0(SALU_CYCLE_1) | instskip(NEXT) | instid1(SALU_CYCLE_1)
	s_and_saveexec_b32 s3, s2
	s_xor_b32 s2, exec_lo, s3
; %bb.69:
	v_lshl_add_u32 v14, v17, 2, v0
	ds_load_b32 v14, v14 offset:4
; %bb.70:
	s_or_saveexec_b32 s2, s2
	v_mov_b32_e32 v15, v13
	s_xor_b32 exec_lo, exec_lo, s2
	s_cbranch_execz .LBB22_72
; %bb.71:
	s_wait_dscnt 0x0
	v_lshl_add_u32 v14, v16, 2, v0
	ds_load_b32 v15, v14 offset:4
	v_mov_b32_e32 v14, v12
.LBB22_72:
	s_or_b32 exec_lo, exec_lo, s2
	v_dual_add_nc_u32 v18, 1, v17 :: v_dual_add_nc_u32 v20, 1, v16
	s_wait_dscnt 0x0
	s_delay_alu instid0(VALU_DEP_2) | instskip(NEXT) | instid1(VALU_DEP_2)
	v_cmp_gt_i32_e64 s3, v15, v14
	v_dual_cndmask_b32 v19, v18, v17, s1 :: v_dual_cndmask_b32 v18, v16, v20, s1
                                        ; implicit-def: $vgpr16
	s_delay_alu instid0(VALU_DEP_1) | instskip(NEXT) | instid1(VALU_DEP_2)
	v_cmp_ge_i32_e64 s2, v19, v3
	v_cmp_lt_i32_e64 s4, v18, v2
	s_or_b32 s2, s2, s3
	s_delay_alu instid0(SALU_CYCLE_1) | instskip(NEXT) | instid1(SALU_CYCLE_1)
	s_and_b32 s2, s4, s2
	s_xor_b32 s3, s2, -1
	s_delay_alu instid0(SALU_CYCLE_1) | instskip(NEXT) | instid1(SALU_CYCLE_1)
	s_and_saveexec_b32 s4, s3
	s_xor_b32 s3, exec_lo, s4
; %bb.73:
	v_lshl_add_u32 v16, v19, 2, v0
	ds_load_b32 v16, v16 offset:4
; %bb.74:
	s_or_saveexec_b32 s3, s3
	v_mov_b32_e32 v17, v15
	s_xor_b32 exec_lo, exec_lo, s3
	s_cbranch_execz .LBB22_76
; %bb.75:
	s_wait_dscnt 0x0
	v_lshl_add_u32 v16, v18, 2, v0
	ds_load_b32 v17, v16 offset:4
	v_mov_b32_e32 v16, v14
.LBB22_76:
	s_or_b32 exec_lo, exec_lo, s3
	v_dual_add_nc_u32 v20, 1, v19 :: v_dual_add_nc_u32 v21, 1, v18
	s_wait_dscnt 0x0
	s_delay_alu instid0(VALU_DEP_2) | instskip(NEXT) | instid1(VALU_DEP_2)
	v_cmp_gt_i32_e64 s4, v17, v16
	v_dual_cndmask_b32 v20, v20, v19, s2 :: v_dual_cndmask_b32 v18, v18, v21, s2
                                        ; implicit-def: $vgpr19
	s_delay_alu instid0(VALU_DEP_1) | instskip(NEXT) | instid1(VALU_DEP_2)
	v_cmp_ge_i32_e64 s3, v20, v3
	v_cmp_lt_i32_e64 s5, v18, v2
	s_or_b32 s3, s3, s4
	s_delay_alu instid0(SALU_CYCLE_1) | instskip(NEXT) | instid1(SALU_CYCLE_1)
	s_and_b32 s3, s5, s3
	s_xor_b32 s4, s3, -1
	s_delay_alu instid0(SALU_CYCLE_1) | instskip(NEXT) | instid1(SALU_CYCLE_1)
	s_and_saveexec_b32 s5, s4
	s_xor_b32 s4, exec_lo, s5
; %bb.77:
	v_lshl_add_u32 v19, v20, 2, v0
	ds_load_b32 v19, v19 offset:4
; %bb.78:
	s_or_saveexec_b32 s4, s4
	v_mov_b32_e32 v21, v17
	s_xor_b32 exec_lo, exec_lo, s4
	s_cbranch_execz .LBB22_80
; %bb.79:
	s_wait_dscnt 0x0
	v_lshl_add_u32 v19, v18, 2, v0
	ds_load_b32 v21, v19 offset:4
	v_mov_b32_e32 v19, v16
.LBB22_80:
	s_or_b32 exec_lo, exec_lo, s4
	v_dual_add_nc_u32 v22, 1, v20 :: v_dual_add_nc_u32 v23, 1, v18
	s_wait_dscnt 0x0
	s_delay_alu instid0(VALU_DEP_2) | instskip(NEXT) | instid1(VALU_DEP_2)
	v_cmp_gt_i32_e64 s5, v21, v19
	v_cndmask_b32_e64 v22, v22, v20, s3
	s_delay_alu instid0(VALU_DEP_3) | instskip(NEXT) | instid1(VALU_DEP_2)
	v_cndmask_b32_e64 v23, v18, v23, s3
                                        ; implicit-def: $vgpr18
	v_cmp_ge_i32_e64 s4, v22, v3
	s_delay_alu instid0(VALU_DEP_2) | instskip(SKIP_1) | instid1(SALU_CYCLE_1)
	v_cmp_lt_i32_e64 s6, v23, v2
	s_or_b32 s4, s4, s5
	s_and_b32 s4, s6, s4
	s_delay_alu instid0(SALU_CYCLE_1) | instskip(NEXT) | instid1(SALU_CYCLE_1)
	s_xor_b32 s5, s4, -1
	s_and_saveexec_b32 s6, s5
	s_delay_alu instid0(SALU_CYCLE_1)
	s_xor_b32 s5, exec_lo, s6
; %bb.81:
	v_lshl_add_u32 v18, v22, 2, v0
	ds_load_b32 v18, v18 offset:4
; %bb.82:
	s_or_saveexec_b32 s5, s5
	v_mov_b32_e32 v20, v21
	s_xor_b32 exec_lo, exec_lo, s5
	s_cbranch_execz .LBB22_84
; %bb.83:
	s_wait_dscnt 0x0
	v_lshl_add_u32 v18, v23, 2, v0
	ds_load_b32 v20, v18 offset:4
	v_mov_b32_e32 v18, v19
.LBB22_84:
	s_or_b32 exec_lo, exec_lo, s5
	v_dual_add_nc_u32 v24, 1, v23 :: v_dual_add_nc_u32 v25, 1, v22
	v_cndmask_b32_e64 v19, v19, v21, s4
	v_dual_cndmask_b32 v16, v16, v17, s3 :: v_dual_cndmask_b32 v10, v10, v11, s0
	s_delay_alu instid0(VALU_DEP_3) | instskip(NEXT) | instid1(VALU_DEP_4)
	v_dual_cndmask_b32 v9, v8, v9, vcc_lo :: v_dual_cndmask_b32 v21, v25, v22, s4
	v_dual_cndmask_b32 v17, v23, v24, s4 :: v_dual_bitop2_b32 v11, 15, v1 bitop3:0x40
	s_wait_dscnt 0x0
	v_cmp_gt_i32_e64 s0, v20, v18
	v_dual_cndmask_b32 v14, v14, v15, s2 :: v_dual_cndmask_b32 v15, v12, v13, s1
	v_cmp_ge_i32_e32 vcc_lo, v21, v3
	v_cmp_lt_i32_e64 s1, v17, v2
	v_mad_u32_u24 v2, v11, 7, 0xffffffc8
	; wave barrier
	s_or_b32 s0, vcc_lo, s0
	v_cmp_lt_u32_e32 vcc_lo, 7, v11
	s_delay_alu instid0(VALU_DEP_2)
	v_cndmask_b32_e32 v13, 0, v2, vcc_lo
	s_and_b32 vcc_lo, s1, s0
	v_and_b32_e32 v3, 16, v1
	v_mul_u32_u24_e32 v8, 7, v11
	v_cndmask_b32_e32 v11, v18, v20, vcc_lo
	s_mov_b32 s1, 0
	s_mov_b32 s0, exec_lo
	v_mul_u32_u24_e32 v12, 7, v3
	v_min_u32_e32 v3, 56, v8
	ds_store_2addr_b32 v7, v9, v10 offset1:1
	ds_store_2addr_b32 v7, v15, v14 offset0:2 offset1:3
	ds_store_2addr_b32 v7, v16, v19 offset0:4 offset1:5
	ds_store_b32 v7, v11 offset:24
	; wave barrier
	v_lshl_add_u32 v2, v12, 2, v0
	v_cmpx_lt_i32_e64 v13, v3
	s_cbranch_execz .LBB22_88
; %bb.85:
	s_delay_alu instid0(VALU_DEP_2)
	v_lshl_add_u32 v9, v8, 2, v2
.LBB22_86:                              ; =>This Inner Loop Header: Depth=1
	v_sub_nc_u32_e32 v10, v3, v13
	s_delay_alu instid0(VALU_DEP_1) | instskip(NEXT) | instid1(VALU_DEP_1)
	v_lshrrev_b32_e32 v10, 1, v10
	v_add_nc_u32_e32 v10, v10, v13
	s_delay_alu instid0(VALU_DEP_1) | instskip(SKIP_1) | instid1(VALU_DEP_2)
	v_not_b32_e32 v11, v10
	v_lshl_add_u32 v14, v10, 2, v2
	v_lshl_add_u32 v11, v11, 2, v9
	ds_load_b32 v14, v14
	ds_load_b32 v11, v11 offset:224
	s_wait_dscnt 0x0
	v_cmp_gt_i32_e32 vcc_lo, v11, v14
	v_dual_add_nc_u32 v15, 1, v10 :: v_dual_cndmask_b32 v3, v3, v10, vcc_lo
	s_delay_alu instid0(VALU_DEP_1) | instskip(NEXT) | instid1(VALU_DEP_1)
	v_cndmask_b32_e32 v13, v15, v13, vcc_lo
	v_cmp_ge_i32_e32 vcc_lo, v13, v3
	s_or_b32 s1, vcc_lo, s1
	s_delay_alu instid0(SALU_CYCLE_1)
	s_and_not1_b32 exec_lo, exec_lo, s1
	s_cbranch_execnz .LBB22_86
; %bb.87:
	s_or_b32 exec_lo, exec_lo, s1
.LBB22_88:
	s_delay_alu instid0(SALU_CYCLE_1) | instskip(SKIP_4) | instid1(VALU_DEP_3)
	s_or_b32 exec_lo, exec_lo, s0
	v_add_nc_u32_e32 v9, 56, v12
	v_add_nc_u32_e32 v3, v12, v8
	v_lshl_add_u32 v11, v13, 2, v2
	v_cmp_lt_i32_e32 vcc_lo, 55, v13
	v_dual_add_nc_u32 v10, v9, v8 :: v_dual_sub_nc_u32 v3, v3, v13
	v_add_nc_u32_e32 v8, 0x70, v12
	s_delay_alu instid0(VALU_DEP_2) | instskip(NEXT) | instid1(VALU_DEP_3)
	v_sub_nc_u32_e32 v14, v10, v13
	v_lshl_add_u32 v15, v3, 2, v0
                                        ; implicit-def: $vgpr10
	ds_load_b32 v2, v11
	ds_load_b32 v3, v15 offset:224
	v_cmp_gt_i32_e64 s1, v8, v14
	s_wait_dscnt 0x0
	v_cmp_gt_i32_e64 s0, v3, v2
	s_or_b32 s0, vcc_lo, s0
	s_delay_alu instid0(SALU_CYCLE_1) | instskip(NEXT) | instid1(SALU_CYCLE_1)
	s_and_b32 vcc_lo, s1, s0
	s_xor_b32 s0, vcc_lo, -1
	s_delay_alu instid0(SALU_CYCLE_1) | instskip(NEXT) | instid1(SALU_CYCLE_1)
	s_and_saveexec_b32 s1, s0
	s_xor_b32 s0, exec_lo, s1
; %bb.89:
	ds_load_b32 v10, v11 offset:4
                                        ; implicit-def: $vgpr15
; %bb.90:
	s_or_saveexec_b32 s0, s0
	v_mov_b32_e32 v11, v3
	s_xor_b32 exec_lo, exec_lo, s0
	s_cbranch_execz .LBB22_92
; %bb.91:
	ds_load_b32 v11, v15 offset:228
	s_wait_dscnt 0x1
	v_mov_b32_e32 v10, v2
.LBB22_92:
	s_or_b32 exec_lo, exec_lo, s0
	v_dual_add_nc_u32 v12, v13, v12 :: v_dual_add_nc_u32 v16, 1, v14
	s_wait_dscnt 0x0
	s_delay_alu instid0(VALU_DEP_2) | instskip(NEXT) | instid1(VALU_DEP_2)
	v_cmp_gt_i32_e64 s1, v11, v10
	v_add_nc_u32_e32 v13, 1, v12
	s_delay_alu instid0(VALU_DEP_3) | instskip(NEXT) | instid1(VALU_DEP_2)
	v_cndmask_b32_e32 v14, v14, v16, vcc_lo
	v_cndmask_b32_e32 v15, v13, v12, vcc_lo
	s_delay_alu instid0(VALU_DEP_2) | instskip(NEXT) | instid1(VALU_DEP_2)
	v_cmp_lt_i32_e64 s2, v14, v8
                                        ; implicit-def: $vgpr12
	v_cmp_ge_i32_e64 s0, v15, v9
	s_or_b32 s0, s0, s1
	s_delay_alu instid0(SALU_CYCLE_1) | instskip(NEXT) | instid1(SALU_CYCLE_1)
	s_and_b32 s0, s2, s0
	s_xor_b32 s1, s0, -1
	s_delay_alu instid0(SALU_CYCLE_1) | instskip(NEXT) | instid1(SALU_CYCLE_1)
	s_and_saveexec_b32 s2, s1
	s_xor_b32 s1, exec_lo, s2
; %bb.93:
	v_lshl_add_u32 v12, v15, 2, v0
	ds_load_b32 v12, v12 offset:4
; %bb.94:
	s_or_saveexec_b32 s1, s1
	v_mov_b32_e32 v13, v11
	s_xor_b32 exec_lo, exec_lo, s1
	s_cbranch_execz .LBB22_96
; %bb.95:
	s_wait_dscnt 0x0
	v_lshl_add_u32 v12, v14, 2, v0
	ds_load_b32 v13, v12 offset:4
	v_mov_b32_e32 v12, v10
.LBB22_96:
	s_or_b32 exec_lo, exec_lo, s1
	v_dual_add_nc_u32 v16, 1, v15 :: v_dual_add_nc_u32 v18, 1, v14
	s_wait_dscnt 0x0
	s_delay_alu instid0(VALU_DEP_2) | instskip(NEXT) | instid1(VALU_DEP_2)
	v_cmp_gt_i32_e64 s2, v13, v12
	v_dual_cndmask_b32 v17, v16, v15, s0 :: v_dual_cndmask_b32 v16, v14, v18, s0
                                        ; implicit-def: $vgpr14
	s_delay_alu instid0(VALU_DEP_1) | instskip(NEXT) | instid1(VALU_DEP_2)
	v_cmp_ge_i32_e64 s1, v17, v9
	v_cmp_lt_i32_e64 s3, v16, v8
	s_or_b32 s1, s1, s2
	s_delay_alu instid0(SALU_CYCLE_1) | instskip(NEXT) | instid1(SALU_CYCLE_1)
	s_and_b32 s1, s3, s1
	s_xor_b32 s2, s1, -1
	s_delay_alu instid0(SALU_CYCLE_1) | instskip(NEXT) | instid1(SALU_CYCLE_1)
	s_and_saveexec_b32 s3, s2
	s_xor_b32 s2, exec_lo, s3
; %bb.97:
	v_lshl_add_u32 v14, v17, 2, v0
	ds_load_b32 v14, v14 offset:4
; %bb.98:
	s_or_saveexec_b32 s2, s2
	v_mov_b32_e32 v15, v13
	s_xor_b32 exec_lo, exec_lo, s2
	s_cbranch_execz .LBB22_100
; %bb.99:
	s_wait_dscnt 0x0
	v_lshl_add_u32 v14, v16, 2, v0
	ds_load_b32 v15, v14 offset:4
	v_mov_b32_e32 v14, v12
.LBB22_100:
	s_or_b32 exec_lo, exec_lo, s2
	v_dual_add_nc_u32 v18, 1, v17 :: v_dual_add_nc_u32 v20, 1, v16
	s_wait_dscnt 0x0
	s_delay_alu instid0(VALU_DEP_2) | instskip(NEXT) | instid1(VALU_DEP_2)
	v_cmp_gt_i32_e64 s3, v15, v14
	v_dual_cndmask_b32 v19, v18, v17, s1 :: v_dual_cndmask_b32 v18, v16, v20, s1
                                        ; implicit-def: $vgpr16
	s_delay_alu instid0(VALU_DEP_1) | instskip(NEXT) | instid1(VALU_DEP_2)
	v_cmp_ge_i32_e64 s2, v19, v9
	v_cmp_lt_i32_e64 s4, v18, v8
	s_or_b32 s2, s2, s3
	s_delay_alu instid0(SALU_CYCLE_1) | instskip(NEXT) | instid1(SALU_CYCLE_1)
	s_and_b32 s2, s4, s2
	s_xor_b32 s3, s2, -1
	s_delay_alu instid0(SALU_CYCLE_1) | instskip(NEXT) | instid1(SALU_CYCLE_1)
	s_and_saveexec_b32 s4, s3
	s_xor_b32 s3, exec_lo, s4
; %bb.101:
	v_lshl_add_u32 v16, v19, 2, v0
	ds_load_b32 v16, v16 offset:4
; %bb.102:
	s_or_saveexec_b32 s3, s3
	v_mov_b32_e32 v17, v15
	s_xor_b32 exec_lo, exec_lo, s3
	s_cbranch_execz .LBB22_104
; %bb.103:
	s_wait_dscnt 0x0
	v_lshl_add_u32 v16, v18, 2, v0
	ds_load_b32 v17, v16 offset:4
	v_mov_b32_e32 v16, v14
.LBB22_104:
	s_or_b32 exec_lo, exec_lo, s3
	v_dual_add_nc_u32 v20, 1, v19 :: v_dual_add_nc_u32 v22, 1, v18
	s_wait_dscnt 0x0
	s_delay_alu instid0(VALU_DEP_2) | instskip(NEXT) | instid1(VALU_DEP_2)
	v_cmp_gt_i32_e64 s4, v17, v16
	v_dual_cndmask_b32 v21, v20, v19, s2 :: v_dual_cndmask_b32 v19, v18, v22, s2
                                        ; implicit-def: $vgpr18
	s_delay_alu instid0(VALU_DEP_1) | instskip(NEXT) | instid1(VALU_DEP_2)
	v_cmp_ge_i32_e64 s3, v21, v9
	v_cmp_lt_i32_e64 s5, v19, v8
	s_or_b32 s3, s3, s4
	s_delay_alu instid0(SALU_CYCLE_1) | instskip(NEXT) | instid1(SALU_CYCLE_1)
	s_and_b32 s3, s5, s3
	s_xor_b32 s4, s3, -1
	s_delay_alu instid0(SALU_CYCLE_1) | instskip(NEXT) | instid1(SALU_CYCLE_1)
	s_and_saveexec_b32 s5, s4
	s_xor_b32 s4, exec_lo, s5
; %bb.105:
	v_lshl_add_u32 v18, v21, 2, v0
	ds_load_b32 v18, v18 offset:4
; %bb.106:
	s_or_saveexec_b32 s4, s4
	v_mov_b32_e32 v20, v17
	s_xor_b32 exec_lo, exec_lo, s4
	s_cbranch_execz .LBB22_108
; %bb.107:
	s_wait_dscnt 0x0
	v_lshl_add_u32 v18, v19, 2, v0
	ds_load_b32 v20, v18 offset:4
	v_mov_b32_e32 v18, v16
.LBB22_108:
	s_or_b32 exec_lo, exec_lo, s4
	v_dual_add_nc_u32 v22, 1, v21 :: v_dual_add_nc_u32 v24, 1, v19
	s_wait_dscnt 0x0
	s_delay_alu instid0(VALU_DEP_2) | instskip(NEXT) | instid1(VALU_DEP_2)
	v_cmp_gt_i32_e64 s5, v20, v18
	v_dual_cndmask_b32 v23, v22, v21, s3 :: v_dual_cndmask_b32 v21, v19, v24, s3
                                        ; implicit-def: $vgpr19
	s_delay_alu instid0(VALU_DEP_1) | instskip(NEXT) | instid1(VALU_DEP_2)
	v_cmp_ge_i32_e64 s4, v23, v9
	v_cmp_lt_i32_e64 s6, v21, v8
	s_or_b32 s4, s4, s5
	s_delay_alu instid0(SALU_CYCLE_1) | instskip(NEXT) | instid1(SALU_CYCLE_1)
	s_and_b32 s4, s6, s4
	s_xor_b32 s5, s4, -1
	s_delay_alu instid0(SALU_CYCLE_1) | instskip(NEXT) | instid1(SALU_CYCLE_1)
	s_and_saveexec_b32 s6, s5
	s_xor_b32 s5, exec_lo, s6
; %bb.109:
	v_lshl_add_u32 v19, v23, 2, v0
	ds_load_b32 v19, v19 offset:4
; %bb.110:
	s_or_saveexec_b32 s5, s5
	v_mov_b32_e32 v22, v20
	s_xor_b32 exec_lo, exec_lo, s5
	s_cbranch_execz .LBB22_112
; %bb.111:
	s_wait_dscnt 0x0
	v_lshl_add_u32 v19, v21, 2, v0
	ds_load_b32 v22, v19 offset:4
	v_mov_b32_e32 v19, v18
.LBB22_112:
	s_or_b32 exec_lo, exec_lo, s5
	v_dual_add_nc_u32 v24, 1, v23 :: v_dual_cndmask_b32 v18, v18, v20, s4
	v_add_nc_u32_e32 v20, 1, v21
	v_dual_cndmask_b32 v16, v16, v17, s3 :: v_dual_cndmask_b32 v14, v14, v15, s2
	s_delay_alu instid0(VALU_DEP_3) | instskip(NEXT) | instid1(VALU_DEP_3)
	v_cndmask_b32_e64 v17, v24, v23, s4
	v_dual_cndmask_b32 v12, v12, v13, s1 :: v_dual_cndmask_b32 v13, v21, v20, s4
	s_wait_dscnt 0x0
	v_cmp_gt_i32_e64 s1, v22, v19
	s_delay_alu instid0(VALU_DEP_3)
	v_cmp_ge_i32_e64 s2, v17, v9
	v_cndmask_b32_e64 v9, v10, v11, s0
	v_dual_cndmask_b32 v3, v2, v3 :: v_dual_add_nc_u32 v10, 0xffffff90, v6
	v_cmp_lt_u32_e64 s0, 15, v1
	v_cmp_lt_i32_e32 vcc_lo, v13, v8
	s_or_b32 s1, s2, s1
	v_min_u32_e32 v2, 0x70, v6
	; wave barrier
	v_cndmask_b32_e64 v1, 0, v10, s0
	s_and_b32 vcc_lo, vcc_lo, s1
	s_mov_b32 s1, 0
	v_cndmask_b32_e32 v8, v19, v22, vcc_lo
	s_mov_b32 s0, exec_lo
	ds_store_2addr_b32 v7, v3, v9 offset1:1
	ds_store_2addr_b32 v7, v12, v14 offset0:2 offset1:3
	ds_store_2addr_b32 v7, v16, v18 offset0:4 offset1:5
	ds_store_b32 v7, v8 offset:24
	; wave barrier
	v_cmpx_lt_u32_e64 v1, v2
	s_cbranch_execz .LBB22_115
.LBB22_113:                             ; =>This Inner Loop Header: Depth=1
	v_sub_nc_u32_e32 v3, v2, v1
	s_delay_alu instid0(VALU_DEP_1) | instskip(NEXT) | instid1(VALU_DEP_1)
	v_lshrrev_b32_e32 v3, 1, v3
	v_add_nc_u32_e32 v3, v3, v1
	s_delay_alu instid0(VALU_DEP_1) | instskip(SKIP_1) | instid1(VALU_DEP_2)
	v_not_b32_e32 v8, v3
	v_lshl_add_u32 v9, v3, 2, v0
	v_lshl_add_u32 v8, v8, 2, v7
	ds_load_b32 v9, v9
	ds_load_b32 v8, v8 offset:448
	s_wait_dscnt 0x0
	v_cmp_gt_i32_e32 vcc_lo, v8, v9
	v_dual_add_nc_u32 v10, 1, v3 :: v_dual_cndmask_b32 v2, v2, v3, vcc_lo
	s_delay_alu instid0(VALU_DEP_1) | instskip(NEXT) | instid1(VALU_DEP_1)
	v_cndmask_b32_e32 v1, v10, v1, vcc_lo
	v_cmp_ge_i32_e32 vcc_lo, v1, v2
	s_or_b32 s1, vcc_lo, s1
	s_delay_alu instid0(SALU_CYCLE_1)
	s_and_not1_b32 exec_lo, exec_lo, s1
	s_cbranch_execnz .LBB22_113
; %bb.114:
	s_or_b32 exec_lo, exec_lo, s1
.LBB22_115:
	s_delay_alu instid0(SALU_CYCLE_1) | instskip(SKIP_3) | instid1(VALU_DEP_3)
	s_or_b32 exec_lo, exec_lo, s0
	v_sub_nc_u32_e32 v6, v6, v1
	v_lshl_add_u32 v7, v1, 2, v0
	v_cmp_lt_i32_e32 vcc_lo, 0x6f, v1
	v_lshl_add_u32 v9, v6, 2, v0
	v_add_nc_u32_e32 v8, 0x70, v6
                                        ; implicit-def: $vgpr6
	ds_load_b32 v2, v7
	ds_load_b32 v3, v9 offset:448
	v_cmp_gt_i32_e64 s1, 0xe0, v8
	s_wait_dscnt 0x0
	v_cmp_gt_i32_e64 s0, v3, v2
	s_or_b32 s0, vcc_lo, s0
	s_delay_alu instid0(SALU_CYCLE_1) | instskip(NEXT) | instid1(SALU_CYCLE_1)
	s_and_b32 vcc_lo, s1, s0
	s_xor_b32 s0, vcc_lo, -1
	s_delay_alu instid0(SALU_CYCLE_1) | instskip(NEXT) | instid1(SALU_CYCLE_1)
	s_and_saveexec_b32 s1, s0
	s_xor_b32 s0, exec_lo, s1
; %bb.116:
	ds_load_b32 v6, v7 offset:4
                                        ; implicit-def: $vgpr9
; %bb.117:
	s_or_saveexec_b32 s0, s0
	v_mov_b32_e32 v7, v3
	s_xor_b32 exec_lo, exec_lo, s0
	s_cbranch_execz .LBB22_119
; %bb.118:
	ds_load_b32 v7, v9 offset:452
	s_wait_dscnt 0x1
	v_mov_b32_e32 v6, v2
.LBB22_119:
	s_or_b32 exec_lo, exec_lo, s0
	v_dual_add_nc_u32 v9, 1, v1 :: v_dual_add_nc_u32 v11, 1, v8
	s_wait_dscnt 0x0
	s_delay_alu instid0(VALU_DEP_2) | instskip(NEXT) | instid1(VALU_DEP_2)
	v_cmp_gt_i32_e64 s1, v7, v6
	v_dual_cndmask_b32 v10, v9, v1 :: v_dual_cndmask_b32 v1, v8, v11
                                        ; implicit-def: $vgpr8
	s_delay_alu instid0(VALU_DEP_1) | instskip(NEXT) | instid1(VALU_DEP_2)
	v_cmp_lt_i32_e64 s0, 0x6f, v10
	v_cmp_gt_i32_e64 s2, 0xe0, v1
	s_or_b32 s0, s0, s1
	s_delay_alu instid0(SALU_CYCLE_1) | instskip(NEXT) | instid1(SALU_CYCLE_1)
	s_and_b32 s0, s2, s0
	s_xor_b32 s1, s0, -1
	s_delay_alu instid0(SALU_CYCLE_1) | instskip(NEXT) | instid1(SALU_CYCLE_1)
	s_and_saveexec_b32 s2, s1
	s_xor_b32 s1, exec_lo, s2
; %bb.120:
	v_lshl_add_u32 v8, v10, 2, v0
	ds_load_b32 v8, v8 offset:4
; %bb.121:
	s_or_saveexec_b32 s1, s1
	v_mov_b32_e32 v9, v7
	s_xor_b32 exec_lo, exec_lo, s1
	s_cbranch_execz .LBB22_123
; %bb.122:
	s_wait_dscnt 0x0
	v_lshl_add_u32 v8, v1, 2, v0
	ds_load_b32 v9, v8 offset:4
	v_mov_b32_e32 v8, v6
.LBB22_123:
	s_or_b32 exec_lo, exec_lo, s1
	v_dual_add_nc_u32 v11, 1, v10 :: v_dual_add_nc_u32 v13, 1, v1
	s_wait_dscnt 0x0
	s_delay_alu instid0(VALU_DEP_2) | instskip(NEXT) | instid1(VALU_DEP_2)
	v_cmp_gt_i32_e64 s2, v9, v8
	v_dual_cndmask_b32 v12, v11, v10, s0 :: v_dual_cndmask_b32 v1, v1, v13, s0
                                        ; implicit-def: $vgpr10
	s_delay_alu instid0(VALU_DEP_1) | instskip(NEXT) | instid1(VALU_DEP_2)
	v_cmp_lt_i32_e64 s1, 0x6f, v12
	v_cmp_gt_i32_e64 s3, 0xe0, v1
	s_or_b32 s1, s1, s2
	s_delay_alu instid0(SALU_CYCLE_1) | instskip(NEXT) | instid1(SALU_CYCLE_1)
	s_and_b32 s1, s3, s1
	s_xor_b32 s2, s1, -1
	s_delay_alu instid0(SALU_CYCLE_1) | instskip(NEXT) | instid1(SALU_CYCLE_1)
	s_and_saveexec_b32 s3, s2
	s_xor_b32 s2, exec_lo, s3
; %bb.124:
	v_lshl_add_u32 v10, v12, 2, v0
	ds_load_b32 v10, v10 offset:4
; %bb.125:
	s_or_saveexec_b32 s2, s2
	v_mov_b32_e32 v11, v9
	s_xor_b32 exec_lo, exec_lo, s2
	s_cbranch_execz .LBB22_127
; %bb.126:
	s_wait_dscnt 0x0
	v_lshl_add_u32 v10, v1, 2, v0
	ds_load_b32 v11, v10 offset:4
	v_mov_b32_e32 v10, v8
.LBB22_127:
	s_or_b32 exec_lo, exec_lo, s2
	v_dual_add_nc_u32 v13, 1, v12 :: v_dual_add_nc_u32 v15, 1, v1
	s_wait_dscnt 0x0
	s_delay_alu instid0(VALU_DEP_2) | instskip(NEXT) | instid1(VALU_DEP_2)
	v_cmp_gt_i32_e64 s3, v11, v10
	v_cndmask_b32_e64 v14, v13, v12, s1
	s_delay_alu instid0(VALU_DEP_3) | instskip(NEXT) | instid1(VALU_DEP_2)
	v_cndmask_b32_e64 v1, v1, v15, s1
                                        ; implicit-def: $vgpr12
	v_cmp_lt_i32_e64 s2, 0x6f, v14
	s_delay_alu instid0(VALU_DEP_2) | instskip(SKIP_1) | instid1(SALU_CYCLE_1)
	v_cmp_gt_i32_e64 s4, 0xe0, v1
	s_or_b32 s2, s2, s3
	s_and_b32 s2, s4, s2
	s_delay_alu instid0(SALU_CYCLE_1) | instskip(NEXT) | instid1(SALU_CYCLE_1)
	s_xor_b32 s3, s2, -1
	s_and_saveexec_b32 s4, s3
	s_delay_alu instid0(SALU_CYCLE_1)
	s_xor_b32 s3, exec_lo, s4
; %bb.128:
	v_lshl_add_u32 v12, v14, 2, v0
	ds_load_b32 v12, v12 offset:4
; %bb.129:
	s_or_saveexec_b32 s3, s3
	v_mov_b32_e32 v13, v11
	s_xor_b32 exec_lo, exec_lo, s3
	s_cbranch_execz .LBB22_131
; %bb.130:
	s_wait_dscnt 0x0
	v_lshl_add_u32 v12, v1, 2, v0
	ds_load_b32 v13, v12 offset:4
	v_mov_b32_e32 v12, v10
.LBB22_131:
	s_or_b32 exec_lo, exec_lo, s3
	v_dual_add_nc_u32 v15, 1, v14 :: v_dual_add_nc_u32 v17, 1, v1
	s_wait_dscnt 0x0
	s_delay_alu instid0(VALU_DEP_2) | instskip(NEXT) | instid1(VALU_DEP_2)
	v_cmp_gt_i32_e64 s4, v13, v12
	v_dual_cndmask_b32 v16, v15, v14, s2 :: v_dual_cndmask_b32 v1, v1, v17, s2
                                        ; implicit-def: $vgpr15
	s_delay_alu instid0(VALU_DEP_1) | instskip(NEXT) | instid1(VALU_DEP_2)
	v_cmp_lt_i32_e64 s3, 0x6f, v16
	v_cmp_gt_i32_e64 s5, 0xe0, v1
	s_or_b32 s3, s3, s4
	s_delay_alu instid0(SALU_CYCLE_1) | instskip(NEXT) | instid1(SALU_CYCLE_1)
	s_and_b32 s3, s5, s3
	s_xor_b32 s4, s3, -1
	s_delay_alu instid0(SALU_CYCLE_1) | instskip(NEXT) | instid1(SALU_CYCLE_1)
	s_and_saveexec_b32 s5, s4
	s_xor_b32 s4, exec_lo, s5
; %bb.132:
	v_lshl_add_u32 v14, v16, 2, v0
	ds_load_b32 v15, v14 offset:4
; %bb.133:
	s_or_saveexec_b32 s4, s4
	v_mov_b32_e32 v14, v13
	s_xor_b32 exec_lo, exec_lo, s4
	s_cbranch_execz .LBB22_135
; %bb.134:
	v_lshl_add_u32 v14, v1, 2, v0
	s_wait_dscnt 0x0
	v_mov_b32_e32 v15, v12
	ds_load_b32 v14, v14 offset:4
.LBB22_135:
	s_or_b32 exec_lo, exec_lo, s4
	v_dual_add_nc_u32 v17, 1, v16 :: v_dual_add_nc_u32 v18, 1, v1
	s_wait_dscnt 0x0
	v_cmp_le_i32_e64 s5, v14, v15
	s_delay_alu instid0(VALU_DEP_2) | instskip(NEXT) | instid1(VALU_DEP_3)
	v_cndmask_b32_e64 v19, v17, v16, s3
	v_cndmask_b32_e64 v16, v1, v18, s3
                                        ; implicit-def: $vgpr17
                                        ; implicit-def: $vgpr18
	s_delay_alu instid0(VALU_DEP_2) | instskip(NEXT) | instid1(VALU_DEP_2)
	v_cmp_gt_i32_e64 s4, 0x70, v19
	v_cmp_lt_i32_e64 s6, 0xdf, v16
	s_and_b32 s4, s4, s5
	s_delay_alu instid0(SALU_CYCLE_1) | instskip(NEXT) | instid1(SALU_CYCLE_1)
	s_or_b32 s4, s6, s4
	s_and_saveexec_b32 s5, s4
	s_delay_alu instid0(SALU_CYCLE_1)
	s_xor_b32 s4, exec_lo, s5
; %bb.136:
	v_lshl_add_u32 v0, v19, 2, v0
	v_add_nc_u32_e32 v18, 1, v19
                                        ; implicit-def: $vgpr19
	ds_load_b32 v17, v0 offset:4
                                        ; implicit-def: $vgpr0
; %bb.137:
	s_or_saveexec_b32 s4, s4
	v_mov_b32_e32 v1, v15
	s_xor_b32 exec_lo, exec_lo, s4
	s_cbranch_execz .LBB22_139
; %bb.138:
	v_lshl_add_u32 v0, v16, 2, v0
	v_dual_mov_b32 v1, v14 :: v_dual_add_nc_u32 v16, 1, v16
	s_wait_dscnt 0x0
	v_dual_mov_b32 v18, v19 :: v_dual_mov_b32 v17, v15
	ds_load_b32 v0, v0 offset:4
	s_wait_dscnt 0x0
	v_mov_b32_e32 v14, v0
.LBB22_139:
	s_or_b32 exec_lo, exec_lo, s4
	v_dual_cndmask_b32 v0, v12, v13, s3 :: v_dual_cndmask_b32 v11, v10, v11, s2
	v_cmp_lt_i32_e64 s3, 0x6f, v18
	s_wait_dscnt 0x0
	v_cmp_gt_i32_e64 s4, v14, v17
	v_cmp_gt_i32_e64 s2, 0xe0, v16
	v_dual_cndmask_b32 v10, v8, v9, s1 :: v_dual_cndmask_b32 v9, v6, v7, s0
	v_cndmask_b32_e32 v8, v2, v3, vcc_lo
	s_or_b32 s0, s3, s4
	s_delay_alu instid0(SALU_CYCLE_1)
	s_and_b32 vcc_lo, s2, s0
	v_cndmask_b32_e32 v2, v17, v14, vcc_lo
	s_clause 0x1
	global_store_b128 v[4:5], v[8:11], off
	global_store_b96 v[4:5], v[0:2], off offset:16
	s_endpgm
	.section	.rodata,"a",@progbits
	.p2align	6, 0x0
	.amdhsa_kernel _Z14sort_keys_fullILj256ELj32ELj7ELb0EiN10test_utils7greaterEEvPT3_T4_
		.amdhsa_group_segment_fixed_size 7200
		.amdhsa_private_segment_fixed_size 0
		.amdhsa_kernarg_size 12
		.amdhsa_user_sgpr_count 2
		.amdhsa_user_sgpr_dispatch_ptr 0
		.amdhsa_user_sgpr_queue_ptr 0
		.amdhsa_user_sgpr_kernarg_segment_ptr 1
		.amdhsa_user_sgpr_dispatch_id 0
		.amdhsa_user_sgpr_kernarg_preload_length 0
		.amdhsa_user_sgpr_kernarg_preload_offset 0
		.amdhsa_user_sgpr_private_segment_size 0
		.amdhsa_wavefront_size32 1
		.amdhsa_uses_dynamic_stack 0
		.amdhsa_enable_private_segment 0
		.amdhsa_system_sgpr_workgroup_id_x 1
		.amdhsa_system_sgpr_workgroup_id_y 0
		.amdhsa_system_sgpr_workgroup_id_z 0
		.amdhsa_system_sgpr_workgroup_info 0
		.amdhsa_system_vgpr_workitem_id 0
		.amdhsa_next_free_vgpr 28
		.amdhsa_next_free_sgpr 8
		.amdhsa_named_barrier_count 0
		.amdhsa_reserve_vcc 1
		.amdhsa_float_round_mode_32 0
		.amdhsa_float_round_mode_16_64 0
		.amdhsa_float_denorm_mode_32 3
		.amdhsa_float_denorm_mode_16_64 3
		.amdhsa_fp16_overflow 0
		.amdhsa_memory_ordered 1
		.amdhsa_forward_progress 1
		.amdhsa_inst_pref_size 56
		.amdhsa_round_robin_scheduling 0
		.amdhsa_exception_fp_ieee_invalid_op 0
		.amdhsa_exception_fp_denorm_src 0
		.amdhsa_exception_fp_ieee_div_zero 0
		.amdhsa_exception_fp_ieee_overflow 0
		.amdhsa_exception_fp_ieee_underflow 0
		.amdhsa_exception_fp_ieee_inexact 0
		.amdhsa_exception_int_div_zero 0
	.end_amdhsa_kernel
	.section	.text._Z14sort_keys_fullILj256ELj32ELj7ELb0EiN10test_utils7greaterEEvPT3_T4_,"axG",@progbits,_Z14sort_keys_fullILj256ELj32ELj7ELb0EiN10test_utils7greaterEEvPT3_T4_,comdat
.Lfunc_end22:
	.size	_Z14sort_keys_fullILj256ELj32ELj7ELb0EiN10test_utils7greaterEEvPT3_T4_, .Lfunc_end22-_Z14sort_keys_fullILj256ELj32ELj7ELb0EiN10test_utils7greaterEEvPT3_T4_
                                        ; -- End function
	.set _Z14sort_keys_fullILj256ELj32ELj7ELb0EiN10test_utils7greaterEEvPT3_T4_.num_vgpr, 28
	.set _Z14sort_keys_fullILj256ELj32ELj7ELb0EiN10test_utils7greaterEEvPT3_T4_.num_agpr, 0
	.set _Z14sort_keys_fullILj256ELj32ELj7ELb0EiN10test_utils7greaterEEvPT3_T4_.numbered_sgpr, 8
	.set _Z14sort_keys_fullILj256ELj32ELj7ELb0EiN10test_utils7greaterEEvPT3_T4_.num_named_barrier, 0
	.set _Z14sort_keys_fullILj256ELj32ELj7ELb0EiN10test_utils7greaterEEvPT3_T4_.private_seg_size, 0
	.set _Z14sort_keys_fullILj256ELj32ELj7ELb0EiN10test_utils7greaterEEvPT3_T4_.uses_vcc, 1
	.set _Z14sort_keys_fullILj256ELj32ELj7ELb0EiN10test_utils7greaterEEvPT3_T4_.uses_flat_scratch, 0
	.set _Z14sort_keys_fullILj256ELj32ELj7ELb0EiN10test_utils7greaterEEvPT3_T4_.has_dyn_sized_stack, 0
	.set _Z14sort_keys_fullILj256ELj32ELj7ELb0EiN10test_utils7greaterEEvPT3_T4_.has_recursion, 0
	.set _Z14sort_keys_fullILj256ELj32ELj7ELb0EiN10test_utils7greaterEEvPT3_T4_.has_indirect_call, 0
	.section	.AMDGPU.csdata,"",@progbits
; Kernel info:
; codeLenInByte = 7092
; TotalNumSgprs: 10
; NumVgprs: 28
; ScratchSize: 0
; MemoryBound: 0
; FloatMode: 240
; IeeeMode: 1
; LDSByteSize: 7200 bytes/workgroup (compile time only)
; SGPRBlocks: 0
; VGPRBlocks: 1
; NumSGPRsForWavesPerEU: 10
; NumVGPRsForWavesPerEU: 28
; NamedBarCnt: 0
; Occupancy: 16
; WaveLimiterHint : 0
; COMPUTE_PGM_RSRC2:SCRATCH_EN: 0
; COMPUTE_PGM_RSRC2:USER_SGPR: 2
; COMPUTE_PGM_RSRC2:TRAP_HANDLER: 0
; COMPUTE_PGM_RSRC2:TGID_X_EN: 1
; COMPUTE_PGM_RSRC2:TGID_Y_EN: 0
; COMPUTE_PGM_RSRC2:TGID_Z_EN: 0
; COMPUTE_PGM_RSRC2:TIDIG_COMP_CNT: 0
	.section	.text._Z14sort_keys_fullILj256ELj8ELj4ELb1ExN10test_utils4lessEEvPT3_T4_,"axG",@progbits,_Z14sort_keys_fullILj256ELj8ELj4ELb1ExN10test_utils4lessEEvPT3_T4_,comdat
	.protected	_Z14sort_keys_fullILj256ELj8ELj4ELb1ExN10test_utils4lessEEvPT3_T4_ ; -- Begin function _Z14sort_keys_fullILj256ELj8ELj4ELb1ExN10test_utils4lessEEvPT3_T4_
	.globl	_Z14sort_keys_fullILj256ELj8ELj4ELb1ExN10test_utils4lessEEvPT3_T4_
	.p2align	8
	.type	_Z14sort_keys_fullILj256ELj8ELj4ELb1ExN10test_utils4lessEEvPT3_T4_,@function
_Z14sort_keys_fullILj256ELj8ELj4ELb1ExN10test_utils4lessEEvPT3_T4_: ; @_Z14sort_keys_fullILj256ELj8ELj4ELb1ExN10test_utils4lessEEvPT3_T4_
; %bb.0:
	s_load_b64 s[0:1], s[0:1], 0x0
	s_bfe_u32 s2, ttmp6, 0x4000c
	s_and_b32 s3, ttmp6, 15
	s_add_co_i32 s2, s2, 1
	s_getreg_b32 s4, hwreg(HW_REG_IB_STS2, 6, 4)
	s_mul_i32 s2, ttmp9, s2
	v_mbcnt_lo_u32_b32 v1, -1, 0
	s_add_co_i32 s3, s3, s2
	s_cmp_eq_u32 s4, 0
	v_lshlrev_b32_e32 v2, 5, v0
	s_cselect_b32 s2, ttmp9, s3
	s_mov_b32 s3, 0
	s_lshl_b32 s2, s2, 10
	v_lshlrev_b32_e32 v21, 2, v1
	s_lshl_b64 s[4:5], s[2:3], 3
	v_dual_mov_b32 v3, 0 :: v_dual_lshrrev_b32 v0, 3, v0
	s_delay_alu instid0(VALU_DEP_2)
	v_and_b32_e32 v19, 28, v21
	v_and_b32_e32 v10, 24, v21
	s_wait_kmcnt 0x0
	s_add_nc_u64 s[4:5], s[0:1], s[4:5]
	v_mov_b32_e32 v11, v3
	s_clause 0x1
	global_load_b128 v[12:15], v2, s[4:5]
	global_load_b128 v[24:27], v2, s[4:5] offset:16
	v_dual_lshlrev_b32 v1, 3, v19 :: v_dual_lshlrev_b32 v4, 3, v10
	v_or_b32_e32 v22, 4, v10
	v_and_b32_e32 v6, 4, v21
	s_delay_alu instid0(VALU_DEP_3) | instskip(NEXT) | instid1(VALU_DEP_4)
	v_mad_u32_u24 v20, 0x108, v0, v1
	v_mad_u32_u24 v1, 0x108, v0, v4
	s_delay_alu instid0(VALU_DEP_4)
	v_sub_nc_u32_e32 v5, v22, v10
	; wave barrier
	s_wait_loadcnt 0x1
	v_max_i64 v[8:9], v[14:15], v[12:13]
	s_wait_loadcnt 0x0
	v_min_i64 v[16:17], v[26:27], v[24:25]
	v_min_i64 v[28:29], v[14:15], v[12:13]
	v_max_i64 v[30:31], v[26:27], v[24:25]
	v_cmp_lt_i64_e32 vcc_lo, v[14:15], v[12:13]
	v_cmp_lt_i64_e64 s0, v[26:27], v[24:25]
	v_dual_cndmask_b32 v5, v12, v14 :: v_dual_min_i32 v4, v6, v5
	s_delay_alu instid0(VALU_DEP_2)
	v_dual_cndmask_b32 v7, v26, v24, s0 :: v_dual_cndmask_b32 v18, v13, v15, vcc_lo
	v_dual_cndmask_b32 v14, v14, v12 :: v_dual_cndmask_b32 v23, v15, v13
	v_dual_cndmask_b32 v12, v25, v27, s0 :: v_dual_cndmask_b32 v15, v27, v25, s0
	v_min_i64 v[32:33], v[16:17], v[8:9]
	v_max_i64 v[34:35], v[16:17], v[8:9]
	v_cmp_lt_i64_e32 vcc_lo, v[16:17], v[28:29]
	v_cndmask_b32_e64 v26, v24, v26, s0
	v_cmp_gt_i64_e64 s0, v[8:9], v[30:31]
	v_cmp_lt_i64_e64 s1, v[16:17], v[8:9]
	s_delay_alu instid0(VALU_DEP_1)
	v_cndmask_b32_e64 v27, v12, v9, s1
	v_cndmask_b32_e64 v17, v23, v17, s1
	v_dual_cndmask_b32 v13, v33, v29 :: v_dual_cndmask_b32 v12, v32, v28
	v_dual_cndmask_b32 v25, v35, v31, s0 :: v_dual_cndmask_b32 v24, v34, v30, s0
	v_dual_cndmask_b32 v9, v18, v33, vcc_lo :: v_dual_cndmask_b32 v15, v15, v35, s0
	v_cndmask_b32_e64 v18, v26, v8, s1
	v_dual_cndmask_b32 v14, v14, v16, s1 :: v_dual_cndmask_b32 v16, v27, v31, s0
	s_delay_alu instid0(VALU_DEP_4) | instskip(NEXT) | instid1(VALU_DEP_3)
	v_cmp_lt_i64_e64 s1, v[24:25], v[12:13]
	v_dual_cndmask_b32 v8, v5, v32, vcc_lo :: v_dual_cndmask_b32 v18, v18, v30, s0
	s_delay_alu instid0(VALU_DEP_3) | instskip(SKIP_3) | instid1(VALU_DEP_3)
	v_dual_cndmask_b32 v5, v17, v29, vcc_lo :: v_dual_cndmask_b32 v23, v14, v28, vcc_lo
	v_cndmask_b32_e64 v14, v7, v34, s0
	s_mov_b32 s0, exec_lo
	v_cndmask_b32_e64 v13, v16, v13, s1
	v_dual_cndmask_b32 v17, v5, v25, s1 :: v_dual_cndmask_b32 v16, v23, v24, s1
	v_cndmask_b32_e64 v12, v18, v12, s1
	ds_store_2addr_b64 v20, v[8:9], v[16:17] offset1:1
	ds_store_2addr_b64 v20, v[12:13], v[14:15] offset0:2 offset1:3
	; wave barrier
	v_cmpx_lt_i32_e32 0, v4
	s_cbranch_execz .LBB23_4
; %bb.1:
	v_lshl_add_u32 v5, v6, 3, v1
	v_mov_b32_e32 v11, v3
.LBB23_2:                               ; =>This Inner Loop Header: Depth=1
	s_delay_alu instid0(VALU_DEP_1) | instskip(NEXT) | instid1(VALU_DEP_1)
	v_sub_nc_u32_e32 v7, v4, v11
	v_lshrrev_b32_e32 v7, 1, v7
	s_delay_alu instid0(VALU_DEP_1) | instskip(NEXT) | instid1(VALU_DEP_1)
	v_add_nc_u32_e32 v7, v7, v11
	v_not_b32_e32 v8, v7
	v_lshl_add_u32 v9, v7, 3, v1
	s_delay_alu instid0(VALU_DEP_2)
	v_lshl_add_u32 v12, v8, 3, v5
	ds_load_b64 v[8:9], v9
	ds_load_b64 v[12:13], v12 offset:32
	s_wait_dscnt 0x0
	v_cmp_lt_i64_e32 vcc_lo, v[12:13], v[8:9]
	v_add_nc_u32_e32 v8, 1, v7
	s_delay_alu instid0(VALU_DEP_1) | instskip(SKIP_1) | instid1(VALU_DEP_1)
	v_cndmask_b32_e32 v11, v8, v11, vcc_lo
	v_cndmask_b32_e32 v4, v4, v7, vcc_lo
	v_cmp_ge_i32_e32 vcc_lo, v11, v4
	s_or_b32 s3, vcc_lo, s3
	s_delay_alu instid0(SALU_CYCLE_1)
	s_and_not1_b32 exec_lo, exec_lo, s3
	s_cbranch_execnz .LBB23_2
; %bb.3:
	s_or_b32 exec_lo, exec_lo, s3
.LBB23_4:
	s_delay_alu instid0(SALU_CYCLE_1)
	s_or_b32 exec_lo, exec_lo, s0
	v_mul_u32_u24_e32 v18, 0x108, v0
	v_add_nc_u32_e32 v0, v10, v6
	v_lshl_add_u32 v8, v11, 3, v1
	v_add_nc_u64_e32 v[4:5], s[4:5], v[2:3]
	v_cmp_lt_i32_e64 s0, 3, v11
	s_delay_alu instid0(VALU_DEP_4) | instskip(NEXT) | instid1(VALU_DEP_1)
	v_dual_add_nc_u32 v6, v22, v6 :: v_dual_sub_nc_u32 v0, v0, v11
	v_dual_add_nc_u32 v23, 8, v10 :: v_dual_sub_nc_u32 v12, v6, v11
	s_delay_alu instid0(VALU_DEP_2)
	v_lshl_add_u32 v13, v0, 3, v18
                                        ; implicit-def: $vgpr6_vgpr7
	ds_load_b64 v[0:1], v8
	ds_load_b64 v[2:3], v13 offset:32
	v_cmp_gt_i32_e64 s1, v23, v12
	s_wait_dscnt 0x0
	v_cmp_lt_i64_e32 vcc_lo, v[2:3], v[0:1]
	s_or_b32 s0, s0, vcc_lo
	s_delay_alu instid0(SALU_CYCLE_1) | instskip(NEXT) | instid1(SALU_CYCLE_1)
	s_and_b32 vcc_lo, s1, s0
	s_xor_b32 s0, vcc_lo, -1
	s_delay_alu instid0(SALU_CYCLE_1) | instskip(NEXT) | instid1(SALU_CYCLE_1)
	s_and_saveexec_b32 s1, s0
	s_xor_b32 s0, exec_lo, s1
; %bb.5:
	ds_load_b64 v[6:7], v8 offset:8
                                        ; implicit-def: $vgpr13
; %bb.6:
	s_or_saveexec_b32 s0, s0
	v_mov_b64_e32 v[8:9], v[2:3]
	s_xor_b32 exec_lo, exec_lo, s0
	s_cbranch_execz .LBB23_8
; %bb.7:
	ds_load_b64 v[8:9], v13 offset:40
	s_wait_dscnt 0x1
	v_mov_b64_e32 v[6:7], v[0:1]
.LBB23_8:
	s_or_b32 exec_lo, exec_lo, s0
	v_dual_add_nc_u32 v10, v11, v10 :: v_dual_add_nc_u32 v13, 1, v12
	s_wait_dscnt 0x0
	s_delay_alu instid0(VALU_DEP_2) | instskip(NEXT) | instid1(VALU_DEP_2)
	v_cmp_lt_i64_e64 s0, v[8:9], v[6:7]
	v_add_nc_u32_e32 v11, 1, v10
	s_delay_alu instid0(VALU_DEP_1) | instskip(NEXT) | instid1(VALU_DEP_1)
	v_dual_cndmask_b32 v11, v11, v10 :: v_dual_cndmask_b32 v10, v12, v13
                                        ; implicit-def: $vgpr12_vgpr13
	v_cmp_ge_i32_e64 s1, v11, v22
	s_delay_alu instid0(VALU_DEP_2) | instskip(SKIP_1) | instid1(SALU_CYCLE_1)
	v_cmp_lt_i32_e64 s2, v10, v23
	s_or_b32 s0, s1, s0
	s_and_b32 s0, s2, s0
	s_delay_alu instid0(SALU_CYCLE_1) | instskip(NEXT) | instid1(SALU_CYCLE_1)
	s_xor_b32 s1, s0, -1
	s_and_saveexec_b32 s2, s1
	s_delay_alu instid0(SALU_CYCLE_1)
	s_xor_b32 s1, exec_lo, s2
; %bb.9:
	v_lshl_add_u32 v12, v11, 3, v18
	ds_load_b64 v[12:13], v12 offset:8
; %bb.10:
	s_or_saveexec_b32 s1, s1
	v_mov_b64_e32 v[16:17], v[8:9]
	s_xor_b32 exec_lo, exec_lo, s1
	s_cbranch_execz .LBB23_12
; %bb.11:
	s_wait_dscnt 0x0
	v_lshl_add_u32 v12, v10, 3, v18
	ds_load_b64 v[16:17], v12 offset:8
	v_mov_b64_e32 v[12:13], v[6:7]
.LBB23_12:
	s_or_b32 exec_lo, exec_lo, s1
	v_dual_add_nc_u32 v14, 1, v11 :: v_dual_add_nc_u32 v15, 1, v10
	s_wait_dscnt 0x0
	s_delay_alu instid0(VALU_DEP_2) | instskip(NEXT) | instid1(VALU_DEP_2)
	v_cmp_lt_i64_e64 s1, v[16:17], v[12:13]
	v_cndmask_b32_e64 v25, v14, v11, s0
	s_delay_alu instid0(VALU_DEP_3) | instskip(NEXT) | instid1(VALU_DEP_2)
	v_cndmask_b32_e64 v24, v10, v15, s0
                                        ; implicit-def: $vgpr10_vgpr11
	v_cmp_ge_i32_e64 s2, v25, v22
	s_delay_alu instid0(VALU_DEP_2) | instskip(SKIP_1) | instid1(SALU_CYCLE_1)
	v_cmp_lt_i32_e64 s3, v24, v23
	s_or_b32 s1, s2, s1
	s_and_b32 s1, s3, s1
	s_delay_alu instid0(SALU_CYCLE_1) | instskip(NEXT) | instid1(SALU_CYCLE_1)
	s_xor_b32 s2, s1, -1
	s_and_saveexec_b32 s3, s2
	s_delay_alu instid0(SALU_CYCLE_1)
	s_xor_b32 s2, exec_lo, s3
; %bb.13:
	v_lshl_add_u32 v10, v25, 3, v18
	ds_load_b64 v[10:11], v10 offset:8
; %bb.14:
	s_or_saveexec_b32 s2, s2
	v_mov_b64_e32 v[14:15], v[16:17]
	s_xor_b32 exec_lo, exec_lo, s2
	s_cbranch_execz .LBB23_16
; %bb.15:
	s_wait_dscnt 0x0
	v_lshl_add_u32 v10, v24, 3, v18
	ds_load_b64 v[14:15], v10 offset:8
	v_mov_b64_e32 v[10:11], v[12:13]
.LBB23_16:
	s_or_b32 exec_lo, exec_lo, s2
	v_dual_add_nc_u32 v26, 1, v25 :: v_dual_cndmask_b32 v16, v12, v16, s1
	v_dual_cndmask_b32 v17, v13, v17, s1 :: v_dual_add_nc_u32 v13, 1, v24
	v_dual_cndmask_b32 v9, v7, v9, s0 :: v_dual_cndmask_b32 v8, v6, v8, s0
	v_dual_cndmask_b32 v3, v1, v3, vcc_lo :: v_dual_bitop2_b32 v12, 16, v21 bitop3:0x40
	s_delay_alu instid0(VALU_DEP_4)
	v_cndmask_b32_e64 v7, v26, v25, s1
	s_wait_dscnt 0x0
	v_cmp_lt_i64_e64 s2, v[14:15], v[10:11]
	v_dual_cndmask_b32 v2, v0, v2, vcc_lo :: v_dual_bitop2_b32 v6, 12, v21 bitop3:0x40
	v_lshl_add_u32 v0, v12, 3, v18
	v_cmp_ge_i32_e64 s0, v7, v22
	v_dual_cndmask_b32 v13, v24, v13, s1 :: v_dual_bitop2_b32 v22, 8, v12 bitop3:0x54
	; wave barrier
	s_or_b32 s0, s0, s2
	s_delay_alu instid0(VALU_DEP_1) | instskip(NEXT) | instid1(VALU_DEP_2)
	v_sub_nc_u32_e32 v1, v22, v12
	v_cmp_lt_i32_e64 s1, v13, v23
	s_delay_alu instid0(VALU_DEP_2)
	v_min_i32_e32 v1, v6, v1
	s_and_b32 vcc_lo, s1, s0
	s_mov_b32 s0, exec_lo
	v_cndmask_b32_e32 v15, v11, v15, vcc_lo
	v_sub_nc_u32_e64 v11, v6, 8 clamp
	v_cndmask_b32_e32 v14, v10, v14, vcc_lo
	ds_store_2addr_b64 v20, v[2:3], v[8:9] offset1:1
	ds_store_2addr_b64 v20, v[16:17], v[14:15] offset0:2 offset1:3
	; wave barrier
	v_cmpx_lt_i32_e64 v11, v1
	s_cbranch_execz .LBB23_20
; %bb.17:
	v_lshl_add_u32 v2, v6, 3, v0
	s_mov_b32 s1, 0
.LBB23_18:                              ; =>This Inner Loop Header: Depth=1
	v_sub_nc_u32_e32 v3, v1, v11
	s_delay_alu instid0(VALU_DEP_1) | instskip(NEXT) | instid1(VALU_DEP_1)
	v_lshrrev_b32_e32 v3, 1, v3
	v_add_nc_u32_e32 v3, v3, v11
	s_delay_alu instid0(VALU_DEP_1) | instskip(SKIP_1) | instid1(VALU_DEP_2)
	v_not_b32_e32 v7, v3
	v_lshl_add_u32 v8, v3, 3, v0
	v_lshl_add_u32 v7, v7, 3, v2
	ds_load_b64 v[8:9], v8
	ds_load_b64 v[14:15], v7 offset:64
	s_wait_dscnt 0x0
	v_cmp_lt_i64_e32 vcc_lo, v[14:15], v[8:9]
	v_dual_add_nc_u32 v7, 1, v3 :: v_dual_cndmask_b32 v1, v1, v3, vcc_lo
	s_delay_alu instid0(VALU_DEP_1) | instskip(NEXT) | instid1(VALU_DEP_1)
	v_cndmask_b32_e32 v11, v7, v11, vcc_lo
	v_cmp_ge_i32_e32 vcc_lo, v11, v1
	s_or_b32 s1, vcc_lo, s1
	s_delay_alu instid0(SALU_CYCLE_1)
	s_and_not1_b32 exec_lo, exec_lo, s1
	s_cbranch_execnz .LBB23_18
; %bb.19:
	s_or_b32 exec_lo, exec_lo, s1
.LBB23_20:
	s_delay_alu instid0(SALU_CYCLE_1) | instskip(SKIP_3) | instid1(VALU_DEP_3)
	s_or_b32 exec_lo, exec_lo, s0
	v_dual_add_nc_u32 v1, v12, v6 :: v_dual_add_nc_u32 v6, v22, v6
	v_lshl_add_u32 v8, v11, 3, v0
	v_cmp_lt_i32_e64 s0, 7, v11
	v_dual_add_nc_u32 v21, 16, v12 :: v_dual_sub_nc_u32 v1, v1, v11
	s_delay_alu instid0(VALU_DEP_4) | instskip(NEXT) | instid1(VALU_DEP_2)
	v_sub_nc_u32_e32 v10, v6, v11
                                        ; implicit-def: $vgpr6_vgpr7
	v_lshl_add_u32 v13, v1, 3, v18
	s_delay_alu instid0(VALU_DEP_2)
	v_cmp_gt_i32_e64 s1, v21, v10
	ds_load_b64 v[0:1], v8
	ds_load_b64 v[2:3], v13 offset:64
	s_wait_dscnt 0x0
	v_cmp_lt_i64_e32 vcc_lo, v[2:3], v[0:1]
	s_or_b32 s0, s0, vcc_lo
	s_delay_alu instid0(SALU_CYCLE_1) | instskip(NEXT) | instid1(SALU_CYCLE_1)
	s_and_b32 vcc_lo, s1, s0
	s_xor_b32 s0, vcc_lo, -1
	s_delay_alu instid0(SALU_CYCLE_1) | instskip(NEXT) | instid1(SALU_CYCLE_1)
	s_and_saveexec_b32 s1, s0
	s_xor_b32 s0, exec_lo, s1
; %bb.21:
	ds_load_b64 v[6:7], v8 offset:8
                                        ; implicit-def: $vgpr13
; %bb.22:
	s_or_saveexec_b32 s0, s0
	v_mov_b64_e32 v[8:9], v[2:3]
	s_xor_b32 exec_lo, exec_lo, s0
	s_cbranch_execz .LBB23_24
; %bb.23:
	ds_load_b64 v[8:9], v13 offset:72
	s_wait_dscnt 0x1
	v_mov_b64_e32 v[6:7], v[0:1]
.LBB23_24:
	s_or_b32 exec_lo, exec_lo, s0
	v_dual_add_nc_u32 v11, v11, v12 :: v_dual_add_nc_u32 v14, 1, v10
	s_wait_dscnt 0x0
	s_delay_alu instid0(VALU_DEP_2) | instskip(NEXT) | instid1(VALU_DEP_2)
	v_cmp_lt_i64_e64 s0, v[8:9], v[6:7]
	v_add_nc_u32_e32 v12, 1, v11
	s_delay_alu instid0(VALU_DEP_1) | instskip(NEXT) | instid1(VALU_DEP_1)
	v_dual_cndmask_b32 v13, v12, v11 :: v_dual_cndmask_b32 v12, v10, v14
                                        ; implicit-def: $vgpr10_vgpr11
	v_cmp_ge_i32_e64 s1, v13, v22
	s_delay_alu instid0(VALU_DEP_2) | instskip(SKIP_1) | instid1(SALU_CYCLE_1)
	v_cmp_lt_i32_e64 s2, v12, v21
	s_or_b32 s0, s1, s0
	s_and_b32 s0, s2, s0
	s_delay_alu instid0(SALU_CYCLE_1) | instskip(NEXT) | instid1(SALU_CYCLE_1)
	s_xor_b32 s1, s0, -1
	s_and_saveexec_b32 s2, s1
	s_delay_alu instid0(SALU_CYCLE_1)
	s_xor_b32 s1, exec_lo, s2
; %bb.25:
	v_lshl_add_u32 v10, v13, 3, v18
	ds_load_b64 v[10:11], v10 offset:8
; %bb.26:
	s_or_saveexec_b32 s1, s1
	v_mov_b64_e32 v[14:15], v[8:9]
	s_xor_b32 exec_lo, exec_lo, s1
	s_cbranch_execz .LBB23_28
; %bb.27:
	s_wait_dscnt 0x0
	v_lshl_add_u32 v10, v12, 3, v18
	ds_load_b64 v[14:15], v10 offset:8
	v_mov_b64_e32 v[10:11], v[6:7]
.LBB23_28:
	s_or_b32 exec_lo, exec_lo, s1
	v_dual_add_nc_u32 v16, 1, v13 :: v_dual_add_nc_u32 v17, 1, v12
	s_wait_dscnt 0x0
	s_delay_alu instid0(VALU_DEP_2) | instskip(NEXT) | instid1(VALU_DEP_2)
	v_cmp_lt_i64_e64 s1, v[14:15], v[10:11]
	v_cndmask_b32_e64 v24, v16, v13, s0
	s_delay_alu instid0(VALU_DEP_3) | instskip(NEXT) | instid1(VALU_DEP_2)
	v_cndmask_b32_e64 v23, v12, v17, s0
                                        ; implicit-def: $vgpr12_vgpr13
	v_cmp_ge_i32_e64 s2, v24, v22
	s_delay_alu instid0(VALU_DEP_2) | instskip(SKIP_1) | instid1(SALU_CYCLE_1)
	v_cmp_lt_i32_e64 s3, v23, v21
	s_or_b32 s1, s2, s1
	s_and_b32 s1, s3, s1
	s_delay_alu instid0(SALU_CYCLE_1) | instskip(NEXT) | instid1(SALU_CYCLE_1)
	s_xor_b32 s2, s1, -1
	s_and_saveexec_b32 s3, s2
	s_delay_alu instid0(SALU_CYCLE_1)
	s_xor_b32 s2, exec_lo, s3
; %bb.29:
	v_lshl_add_u32 v12, v24, 3, v18
	ds_load_b64 v[12:13], v12 offset:8
; %bb.30:
	s_or_saveexec_b32 s2, s2
	v_mov_b64_e32 v[16:17], v[14:15]
	s_xor_b32 exec_lo, exec_lo, s2
	s_cbranch_execz .LBB23_32
; %bb.31:
	s_wait_dscnt 0x0
	v_lshl_add_u32 v12, v23, 3, v18
	ds_load_b64 v[16:17], v12 offset:8
	v_mov_b64_e32 v[12:13], v[10:11]
.LBB23_32:
	s_or_b32 exec_lo, exec_lo, s2
	v_dual_add_nc_u32 v25, 1, v24 :: v_dual_add_nc_u32 v26, 1, v23
	v_dual_cndmask_b32 v11, v11, v15, s1 :: v_dual_cndmask_b32 v10, v10, v14, s1
	v_dual_cndmask_b32 v3, v1, v3 :: v_dual_cndmask_b32 v2, v0, v2
	s_delay_alu instid0(VALU_DEP_3) | instskip(NEXT) | instid1(VALU_DEP_4)
	v_dual_cndmask_b32 v14, v25, v24, s1 :: v_dual_cndmask_b32 v7, v7, v9, s0
	v_dual_cndmask_b32 v9, v23, v26, s1 :: v_dual_cndmask_b32 v6, v6, v8, s0
	s_wait_dscnt 0x0
	v_cmp_lt_i64_e64 s1, v[16:17], v[12:13]
	s_delay_alu instid0(VALU_DEP_3) | instskip(SKIP_4) | instid1(SALU_CYCLE_1)
	v_cmp_ge_i32_e64 s0, v14, v22
	v_sub_nc_u32_e64 v0, v19, 16 clamp
	v_cmp_lt_i32_e64 s2, v9, v21
	v_min_u32_e32 v1, 16, v19
	; wave barrier
	s_or_b32 s0, s0, s1
	s_and_b32 vcc_lo, s2, s0
	s_mov_b32 s0, exec_lo
	v_dual_cndmask_b32 v9, v13, v17 :: v_dual_cndmask_b32 v8, v12, v16
	ds_store_2addr_b64 v20, v[2:3], v[6:7] offset1:1
	ds_store_2addr_b64 v20, v[10:11], v[8:9] offset0:2 offset1:3
	; wave barrier
	v_cmpx_lt_u32_e64 v0, v1
	s_cbranch_execz .LBB23_36
; %bb.33:
	s_mov_b32 s1, 0
.LBB23_34:                              ; =>This Inner Loop Header: Depth=1
	v_sub_nc_u32_e32 v2, v1, v0
	s_delay_alu instid0(VALU_DEP_1) | instskip(NEXT) | instid1(VALU_DEP_1)
	v_lshrrev_b32_e32 v2, 1, v2
	v_add_nc_u32_e32 v8, v2, v0
	s_delay_alu instid0(VALU_DEP_1) | instskip(SKIP_1) | instid1(VALU_DEP_2)
	v_not_b32_e32 v2, v8
	v_lshl_add_u32 v3, v8, 3, v18
	v_lshl_add_u32 v6, v2, 3, v20
	ds_load_b64 v[2:3], v3
	ds_load_b64 v[6:7], v6 offset:128
	s_wait_dscnt 0x0
	v_cmp_lt_i64_e32 vcc_lo, v[6:7], v[2:3]
	v_add_nc_u32_e32 v2, 1, v8
	s_delay_alu instid0(VALU_DEP_1) | instskip(SKIP_1) | instid1(VALU_DEP_1)
	v_cndmask_b32_e32 v0, v2, v0, vcc_lo
	v_cndmask_b32_e32 v1, v1, v8, vcc_lo
	v_cmp_ge_i32_e32 vcc_lo, v0, v1
	s_or_b32 s1, vcc_lo, s1
	s_delay_alu instid0(SALU_CYCLE_1)
	s_and_not1_b32 exec_lo, exec_lo, s1
	s_cbranch_execnz .LBB23_34
; %bb.35:
	s_or_b32 exec_lo, exec_lo, s1
.LBB23_36:
	s_delay_alu instid0(SALU_CYCLE_1) | instskip(SKIP_3) | instid1(VALU_DEP_3)
	s_or_b32 exec_lo, exec_lo, s0
	v_sub_nc_u32_e32 v1, v19, v0
	v_lshl_add_u32 v10, v0, 3, v18
	v_cmp_lt_i32_e64 s0, 15, v0
                                        ; implicit-def: $vgpr8_vgpr9
	v_lshl_add_u32 v12, v1, 3, v18
	v_add_nc_u32_e32 v1, 16, v1
	ds_load_b64 v[2:3], v10
	ds_load_b64 v[6:7], v12 offset:128
	v_cmp_gt_i32_e64 s1, 32, v1
	s_wait_dscnt 0x0
	v_cmp_lt_i64_e32 vcc_lo, v[6:7], v[2:3]
	s_or_b32 s0, s0, vcc_lo
	s_delay_alu instid0(SALU_CYCLE_1) | instskip(NEXT) | instid1(SALU_CYCLE_1)
	s_and_b32 vcc_lo, s1, s0
	s_xor_b32 s0, vcc_lo, -1
	s_delay_alu instid0(SALU_CYCLE_1) | instskip(NEXT) | instid1(SALU_CYCLE_1)
	s_and_saveexec_b32 s1, s0
	s_xor_b32 s0, exec_lo, s1
; %bb.37:
	ds_load_b64 v[8:9], v10 offset:8
                                        ; implicit-def: $vgpr12
; %bb.38:
	s_or_saveexec_b32 s0, s0
	v_mov_b64_e32 v[10:11], v[6:7]
	s_xor_b32 exec_lo, exec_lo, s0
	s_cbranch_execz .LBB23_40
; %bb.39:
	ds_load_b64 v[10:11], v12 offset:136
	s_wait_dscnt 0x1
	v_mov_b64_e32 v[8:9], v[2:3]
.LBB23_40:
	s_or_b32 exec_lo, exec_lo, s0
	v_dual_add_nc_u32 v12, 1, v0 :: v_dual_add_nc_u32 v13, 1, v1
	s_wait_dscnt 0x0
	s_delay_alu instid0(VALU_DEP_2) | instskip(NEXT) | instid1(VALU_DEP_2)
	v_cmp_lt_i64_e64 s0, v[10:11], v[8:9]
                                        ; implicit-def: $vgpr14_vgpr15
	v_dual_cndmask_b32 v16, v12, v0, vcc_lo :: v_dual_cndmask_b32 v0, v1, v13, vcc_lo
	s_delay_alu instid0(VALU_DEP_1) | instskip(NEXT) | instid1(VALU_DEP_2)
	v_cmp_lt_i32_e64 s1, 15, v16
	v_cmp_gt_i32_e64 s2, 32, v0
	s_or_b32 s0, s1, s0
	s_delay_alu instid0(SALU_CYCLE_1) | instskip(NEXT) | instid1(SALU_CYCLE_1)
	s_and_b32 s0, s2, s0
	s_xor_b32 s1, s0, -1
	s_delay_alu instid0(SALU_CYCLE_1) | instskip(NEXT) | instid1(SALU_CYCLE_1)
	s_and_saveexec_b32 s2, s1
	s_xor_b32 s1, exec_lo, s2
; %bb.41:
	v_lshl_add_u32 v1, v16, 3, v18
	ds_load_b64 v[14:15], v1 offset:8
; %bb.42:
	s_or_saveexec_b32 s1, s1
	v_mov_b64_e32 v[12:13], v[10:11]
	s_xor_b32 exec_lo, exec_lo, s1
	s_cbranch_execz .LBB23_44
; %bb.43:
	v_lshl_add_u32 v1, v0, 3, v18
	s_wait_dscnt 0x0
	v_mov_b64_e32 v[14:15], v[8:9]
	ds_load_b64 v[12:13], v1 offset:8
.LBB23_44:
	s_or_b32 exec_lo, exec_lo, s1
	v_add_nc_u32_e32 v17, 1, v0
	v_add_nc_u32_e32 v1, 1, v16
	s_wait_dscnt 0x0
	v_cmp_ge_i64_e64 s1, v[12:13], v[14:15]
                                        ; implicit-def: $vgpr20
	s_delay_alu instid0(VALU_DEP_2) | instskip(NEXT) | instid1(VALU_DEP_1)
	v_dual_cndmask_b32 v19, v0, v17, s0 :: v_dual_cndmask_b32 v21, v1, v16, s0
                                        ; implicit-def: $vgpr16_vgpr17
	v_cmp_lt_i32_e64 s3, 31, v19
	s_delay_alu instid0(VALU_DEP_2) | instskip(SKIP_1) | instid1(SALU_CYCLE_1)
	v_cmp_gt_i32_e64 s2, 16, v21
	s_and_b32 s1, s2, s1
	s_or_b32 s1, s3, s1
	s_delay_alu instid0(SALU_CYCLE_1) | instskip(NEXT) | instid1(SALU_CYCLE_1)
	s_and_saveexec_b32 s2, s1
	s_xor_b32 s1, exec_lo, s2
; %bb.45:
	v_lshl_add_u32 v0, v21, 3, v18
	v_add_nc_u32_e32 v20, 1, v21
                                        ; implicit-def: $vgpr18
                                        ; implicit-def: $vgpr21
	ds_load_b64 v[16:17], v0 offset:8
; %bb.46:
	s_or_saveexec_b32 s1, s1
	v_mov_b64_e32 v[0:1], v[14:15]
	s_xor_b32 exec_lo, exec_lo, s1
	s_cbranch_execz .LBB23_48
; %bb.47:
	v_lshl_add_u32 v0, v19, 3, v18
	s_wait_dscnt 0x0
	v_mov_b64_e32 v[16:17], v[14:15]
	v_dual_mov_b32 v20, v21 :: v_dual_add_nc_u32 v19, 1, v19
	ds_load_b64 v[22:23], v0 offset:8
	v_mov_b64_e32 v[0:1], v[12:13]
	s_wait_dscnt 0x0
	v_mov_b64_e32 v[12:13], v[22:23]
.LBB23_48:
	s_or_b32 exec_lo, exec_lo, s1
	s_wait_dscnt 0x0
	s_delay_alu instid0(VALU_DEP_1)
	v_cmp_lt_i64_e64 s1, v[12:13], v[16:17]
	v_cmp_lt_i32_e64 s2, 15, v20
	v_cmp_gt_i32_e64 s3, 32, v19
	v_dual_cndmask_b32 v9, v9, v11, s0 :: v_dual_cndmask_b32 v8, v8, v10, s0
	v_dual_cndmask_b32 v7, v3, v7 :: v_dual_cndmask_b32 v6, v2, v6
	s_or_b32 s0, s2, s1
	s_delay_alu instid0(SALU_CYCLE_1)
	s_and_b32 vcc_lo, s3, s0
	v_dual_cndmask_b32 v3, v17, v13 :: v_dual_cndmask_b32 v2, v16, v12
	s_clause 0x1
	global_store_b128 v[4:5], v[6:9], off
	global_store_b128 v[4:5], v[0:3], off offset:16
	s_endpgm
	.section	.rodata,"a",@progbits
	.p2align	6, 0x0
	.amdhsa_kernel _Z14sort_keys_fullILj256ELj8ELj4ELb1ExN10test_utils4lessEEvPT3_T4_
		.amdhsa_group_segment_fixed_size 8448
		.amdhsa_private_segment_fixed_size 0
		.amdhsa_kernarg_size 12
		.amdhsa_user_sgpr_count 2
		.amdhsa_user_sgpr_dispatch_ptr 0
		.amdhsa_user_sgpr_queue_ptr 0
		.amdhsa_user_sgpr_kernarg_segment_ptr 1
		.amdhsa_user_sgpr_dispatch_id 0
		.amdhsa_user_sgpr_kernarg_preload_length 0
		.amdhsa_user_sgpr_kernarg_preload_offset 0
		.amdhsa_user_sgpr_private_segment_size 0
		.amdhsa_wavefront_size32 1
		.amdhsa_uses_dynamic_stack 0
		.amdhsa_enable_private_segment 0
		.amdhsa_system_sgpr_workgroup_id_x 1
		.amdhsa_system_sgpr_workgroup_id_y 0
		.amdhsa_system_sgpr_workgroup_id_z 0
		.amdhsa_system_sgpr_workgroup_info 0
		.amdhsa_system_vgpr_workitem_id 0
		.amdhsa_next_free_vgpr 36
		.amdhsa_next_free_sgpr 6
		.amdhsa_named_barrier_count 0
		.amdhsa_reserve_vcc 1
		.amdhsa_float_round_mode_32 0
		.amdhsa_float_round_mode_16_64 0
		.amdhsa_float_denorm_mode_32 3
		.amdhsa_float_denorm_mode_16_64 3
		.amdhsa_fp16_overflow 0
		.amdhsa_memory_ordered 1
		.amdhsa_forward_progress 1
		.amdhsa_inst_pref_size 22
		.amdhsa_round_robin_scheduling 0
		.amdhsa_exception_fp_ieee_invalid_op 0
		.amdhsa_exception_fp_denorm_src 0
		.amdhsa_exception_fp_ieee_div_zero 0
		.amdhsa_exception_fp_ieee_overflow 0
		.amdhsa_exception_fp_ieee_underflow 0
		.amdhsa_exception_fp_ieee_inexact 0
		.amdhsa_exception_int_div_zero 0
	.end_amdhsa_kernel
	.section	.text._Z14sort_keys_fullILj256ELj8ELj4ELb1ExN10test_utils4lessEEvPT3_T4_,"axG",@progbits,_Z14sort_keys_fullILj256ELj8ELj4ELb1ExN10test_utils4lessEEvPT3_T4_,comdat
.Lfunc_end23:
	.size	_Z14sort_keys_fullILj256ELj8ELj4ELb1ExN10test_utils4lessEEvPT3_T4_, .Lfunc_end23-_Z14sort_keys_fullILj256ELj8ELj4ELb1ExN10test_utils4lessEEvPT3_T4_
                                        ; -- End function
	.set _Z14sort_keys_fullILj256ELj8ELj4ELb1ExN10test_utils4lessEEvPT3_T4_.num_vgpr, 36
	.set _Z14sort_keys_fullILj256ELj8ELj4ELb1ExN10test_utils4lessEEvPT3_T4_.num_agpr, 0
	.set _Z14sort_keys_fullILj256ELj8ELj4ELb1ExN10test_utils4lessEEvPT3_T4_.numbered_sgpr, 6
	.set _Z14sort_keys_fullILj256ELj8ELj4ELb1ExN10test_utils4lessEEvPT3_T4_.num_named_barrier, 0
	.set _Z14sort_keys_fullILj256ELj8ELj4ELb1ExN10test_utils4lessEEvPT3_T4_.private_seg_size, 0
	.set _Z14sort_keys_fullILj256ELj8ELj4ELb1ExN10test_utils4lessEEvPT3_T4_.uses_vcc, 1
	.set _Z14sort_keys_fullILj256ELj8ELj4ELb1ExN10test_utils4lessEEvPT3_T4_.uses_flat_scratch, 0
	.set _Z14sort_keys_fullILj256ELj8ELj4ELb1ExN10test_utils4lessEEvPT3_T4_.has_dyn_sized_stack, 0
	.set _Z14sort_keys_fullILj256ELj8ELj4ELb1ExN10test_utils4lessEEvPT3_T4_.has_recursion, 0
	.set _Z14sort_keys_fullILj256ELj8ELj4ELb1ExN10test_utils4lessEEvPT3_T4_.has_indirect_call, 0
	.section	.AMDGPU.csdata,"",@progbits
; Kernel info:
; codeLenInByte = 2724
; TotalNumSgprs: 8
; NumVgprs: 36
; ScratchSize: 0
; MemoryBound: 0
; FloatMode: 240
; IeeeMode: 1
; LDSByteSize: 8448 bytes/workgroup (compile time only)
; SGPRBlocks: 0
; VGPRBlocks: 2
; NumSGPRsForWavesPerEU: 8
; NumVGPRsForWavesPerEU: 36
; NamedBarCnt: 0
; Occupancy: 16
; WaveLimiterHint : 0
; COMPUTE_PGM_RSRC2:SCRATCH_EN: 0
; COMPUTE_PGM_RSRC2:USER_SGPR: 2
; COMPUTE_PGM_RSRC2:TRAP_HANDLER: 0
; COMPUTE_PGM_RSRC2:TGID_X_EN: 1
; COMPUTE_PGM_RSRC2:TGID_Y_EN: 0
; COMPUTE_PGM_RSRC2:TGID_Z_EN: 0
; COMPUTE_PGM_RSRC2:TIDIG_COMP_CNT: 0
	.section	.text._Z14sort_keys_fullILj256ELj32ELj8ELb0EN10test_utils16custom_test_typeIfEENS0_4lessEEvPT3_T4_,"axG",@progbits,_Z14sort_keys_fullILj256ELj32ELj8ELb0EN10test_utils16custom_test_typeIfEENS0_4lessEEvPT3_T4_,comdat
	.protected	_Z14sort_keys_fullILj256ELj32ELj8ELb0EN10test_utils16custom_test_typeIfEENS0_4lessEEvPT3_T4_ ; -- Begin function _Z14sort_keys_fullILj256ELj32ELj8ELb0EN10test_utils16custom_test_typeIfEENS0_4lessEEvPT3_T4_
	.globl	_Z14sort_keys_fullILj256ELj32ELj8ELb0EN10test_utils16custom_test_typeIfEENS0_4lessEEvPT3_T4_
	.p2align	8
	.type	_Z14sort_keys_fullILj256ELj32ELj8ELb0EN10test_utils16custom_test_typeIfEENS0_4lessEEvPT3_T4_,@function
_Z14sort_keys_fullILj256ELj32ELj8ELb0EN10test_utils16custom_test_typeIfEENS0_4lessEEvPT3_T4_: ; @_Z14sort_keys_fullILj256ELj32ELj8ELb0EN10test_utils16custom_test_typeIfEENS0_4lessEEvPT3_T4_
; %bb.0:
	s_load_b64 s[0:1], s[0:1], 0x0
	s_bfe_u32 s2, ttmp6, 0x4000c
	s_and_b32 s3, ttmp6, 15
	s_add_co_i32 s2, s2, 1
	s_getreg_b32 s4, hwreg(HW_REG_IB_STS2, 6, 4)
	s_mul_i32 s2, ttmp9, s2
	s_mov_b32 s11, 0
	s_add_co_i32 s3, s3, s2
	s_cmp_eq_u32 s4, 0
	v_mbcnt_lo_u32_b32 v1, -1, 0
	s_cselect_b32 s2, ttmp9, s3
	v_lshlrev_b32_e32 v2, 6, v0
	s_lshl_b32 s10, s2, 11
	v_dual_mov_b32 v3, 0 :: v_dual_lshrrev_b32 v4, 5, v0
	s_lshl_b64 s[2:3], s[10:11], 3
	v_dual_lshlrev_b32 v35, 3, v1 :: v_dual_lshlrev_b32 v0, 6, v1
	s_delay_alu instid0(VALU_DEP_2) | instskip(SKIP_2) | instid1(VALU_DEP_2)
	v_mov_b32_e32 v11, v3
	s_wait_kmcnt 0x0
	s_add_nc_u64 s[12:13], s[0:1], s[2:3]
	v_and_b32_e32 v10, 0xf0, v35
	s_clause 0x3
	global_load_b128 v[12:15], v2, s[12:13]
	global_load_b128 v[16:19], v2, s[12:13] offset:16
	global_load_b128 v[20:23], v2, s[12:13] offset:32
	;; [unrolled: 1-line block ×3, first 2 shown]
	v_mad_u32_u24 v36, 0x808, v4, v0
	; wave barrier
	v_dual_lshlrev_b32 v1, 3, v10 :: v_dual_bitop2_b32 v37, 8, v10 bitop3:0x54
	s_delay_alu instid0(VALU_DEP_1) | instskip(NEXT) | instid1(VALU_DEP_2)
	v_dual_sub_nc_u32 v7, v37, v10 :: v_dual_bitop2_b32 v6, 8, v35 bitop3:0x40
	v_mad_u32_u24 v5, 0x808, v4, v1
	s_wait_loadcnt 0x3
	v_cmp_neq_f32_e64 s0, v14, v12
	v_cmp_nlt_f32_e64 s1, v15, v13
	s_wait_loadcnt 0x2
	v_cmp_neq_f32_e64 s3, v18, v16
	v_cmp_nlt_f32_e64 s4, v19, v17
	;; [unrolled: 3-line block ×3, first 2 shown]
	v_cmp_nlt_f32_e32 vcc_lo, v14, v12
	v_cmp_nlt_f32_e64 s2, v18, v16
	v_cmp_nlt_f32_e64 s5, v22, v20
	s_wait_loadcnt 0x0
	v_cmp_neq_f32_e64 s8, v26, v24
	v_cmp_nlt_f32_e64 s9, v27, v25
	v_cmp_nlt_f32_e64 s10, v26, v24
	s_or_b32 s0, s0, s1
	s_or_b32 s1, s3, s4
	;; [unrolled: 1-line block ×4, first 2 shown]
	s_and_b32 vcc_lo, vcc_lo, s0
	s_and_b32 s0, s2, s1
	s_and_b32 s1, s5, s3
	v_dual_cndmask_b32 v1, v13, v15 :: v_dual_cndmask_b32 v28, v12, v14
	v_dual_cndmask_b32 v8, v21, v23, s1 :: v_dual_cndmask_b32 v12, v14, v12, vcc_lo
	s_and_b32 s2, s10, s4
	s_delay_alu instid0(SALU_CYCLE_1)
	v_dual_cndmask_b32 v9, v27, v25, s2 :: v_dual_min_i32 v0, v6, v7
	v_dual_cndmask_b32 v7, v17, v19, s0 :: v_dual_cndmask_b32 v13, v15, v13, vcc_lo
	v_dual_cndmask_b32 v14, v16, v18, s0 :: v_dual_cndmask_b32 v15, v19, v17, s0
	v_dual_cndmask_b32 v16, v18, v16, s0 :: v_dual_cndmask_b32 v17, v20, v22, s1
	;; [unrolled: 1-line block ×4, first 2 shown]
	v_cndmask_b32_e64 v22, v24, v26, s2
	s_delay_alu instid0(VALU_DEP_4)
	v_cmp_neq_f32_e64 s1, v16, v28
	v_cmp_nlt_f32_e64 s2, v15, v1
	v_cmp_neq_f32_e64 s3, v19, v14
	v_cmp_nlt_f32_e64 s4, v18, v7
	v_cmp_nlt_f32_e32 vcc_lo, v9, v8
	v_cmp_nlt_f32_e64 s0, v16, v28
	v_cmp_neq_f32_e64 s5, v20, v17
	v_cmp_nlt_f32_e64 s6, v19, v14
	v_cmp_nlt_f32_e64 s7, v20, v17
	s_or_b32 s1, s1, s2
	s_or_b32 s2, s3, s4
	s_or_b32 s3, s5, vcc_lo
	s_and_b32 vcc_lo, s0, s1
	s_and_b32 s0, s6, s2
	v_cndmask_b32_e32 v23, v1, v15, vcc_lo
	s_and_b32 s1, s7, s3
	s_delay_alu instid0(SALU_CYCLE_1)
	v_dual_cndmask_b32 v24, v7, v18, s0 :: v_dual_cndmask_b32 v25, v9, v8, s1
	v_dual_cndmask_b32 v26, v28, v16 :: v_dual_cndmask_b32 v1, v15, v1
	v_dual_cndmask_b32 v15, v16, v28, vcc_lo :: v_dual_cndmask_b32 v16, v14, v19, s0
	v_dual_cndmask_b32 v7, v18, v7, s0 :: v_dual_cndmask_b32 v14, v19, v14, s0
	v_cndmask_b32_e64 v18, v20, v17, s1
	v_dual_cndmask_b32 v8, v8, v9, s1 :: v_dual_cndmask_b32 v9, v17, v20, s1
	s_delay_alu instid0(VALU_DEP_4)
	v_cmp_neq_f32_e64 s1, v15, v12
	v_cmp_nlt_f32_e64 s2, v1, v13
	v_cmp_neq_f32_e64 s4, v14, v26
	v_cmp_nlt_f32_e64 s5, v7, v23
	v_cmp_nlt_f32_e32 vcc_lo, v25, v24
	v_cmp_nlt_f32_e64 s0, v15, v12
	v_cmp_nlt_f32_e64 s3, v14, v26
	v_cmp_neq_f32_e64 s7, v18, v16
	s_or_b32 s1, s1, s2
	s_or_b32 s2, s4, s5
	v_cmp_neq_f32_e64 s8, v22, v9
	v_cmp_nlt_f32_e64 s6, v18, v16
	s_or_b32 s4, s7, vcc_lo
	s_and_b32 vcc_lo, s0, s1
	s_and_b32 s0, s3, s2
	v_cmp_nlt_f32_e64 s10, v22, v9
	v_cndmask_b32_e64 v19, v23, v7, s0
	v_cmp_nlt_f32_e64 s9, v21, v8
	s_and_b32 s1, s6, s4
	v_dual_cndmask_b32 v17, v13, v1 :: v_dual_cndmask_b32 v28, v12, v15
	v_cndmask_b32_e64 v20, v25, v24, s1
	s_or_b32 s5, s8, s9
	v_dual_cndmask_b32 v1, v1, v13 :: v_dual_cndmask_b32 v12, v15, v12
	s_and_b32 s2, s10, s5
	s_delay_alu instid0(SALU_CYCLE_1)
	v_dual_cndmask_b32 v13, v26, v14, s0 :: v_dual_cndmask_b32 v27, v21, v8, s2
	v_dual_cndmask_b32 v7, v7, v23, s0 :: v_dual_cndmask_b32 v14, v14, v26, s0
	;; [unrolled: 1-line block ×5, first 2 shown]
	v_cmp_nlt_f32_e32 vcc_lo, v20, v19
	v_cmp_neq_f32_e64 s1, v14, v28
	v_cmp_nlt_f32_e64 s2, v7, v17
	v_cmp_neq_f32_e64 s3, v15, v13
	v_cmp_neq_f32_e64 s4, v18, v16
	v_cmp_nlt_f32_e64 s5, v27, v23
	v_cmp_nlt_f32_e64 s0, v14, v28
	v_cmp_nlt_f32_e64 s6, v15, v13
	v_cmp_nlt_f32_e64 s7, v18, v16
	s_or_b32 s1, s1, s2
	s_or_b32 s2, s3, vcc_lo
	s_or_b32 s3, s4, s5
	s_and_b32 vcc_lo, s0, s1
	s_and_b32 s0, s6, s2
	s_and_b32 s1, s7, s3
	v_cndmask_b32_e32 v21, v17, v7, vcc_lo
	v_dual_cndmask_b32 v22, v20, v19, s0 :: v_dual_cndmask_b32 v7, v7, v17, vcc_lo
	v_dual_cndmask_b32 v24, v27, v23, s1 :: v_dual_cndmask_b32 v25, v28, v14, vcc_lo
	v_dual_cndmask_b32 v14, v14, v28, vcc_lo :: v_dual_cndmask_b32 v17, v15, v13, s0
	v_dual_cndmask_b32 v19, v19, v20, s0 :: v_dual_cndmask_b32 v13, v13, v15, s0
	v_dual_cndmask_b32 v15, v18, v16, s1 :: v_dual_cndmask_b32 v20, v23, v27, s1
	v_cndmask_b32_e64 v16, v16, v18, s1
	s_delay_alu instid0(VALU_DEP_4)
	v_cmp_neq_f32_e64 s1, v14, v12
	v_cmp_nlt_f32_e64 s2, v7, v1
	v_cmp_nlt_f32_e32 vcc_lo, v22, v21
	v_cmp_nlt_f32_e64 s0, v14, v12
	v_cmp_neq_f32_e64 s4, v17, v25
	v_cmp_neq_f32_e64 s6, v15, v13
	s_or_b32 s1, s1, s2
	v_cmp_nlt_f32_e64 s7, v24, v19
	v_cmp_nlt_f32_e64 s9, v8, v20
	s_or_b32 s2, s4, vcc_lo
	s_and_b32 vcc_lo, s0, s1
	v_cmp_nlt_f32_e64 s3, v17, v25
	v_cndmask_b32_e32 v18, v1, v7, vcc_lo
	v_cmp_neq_f32_e64 s8, v9, v16
	v_cmp_nlt_f32_e64 s10, v9, v16
	v_cmp_nlt_f32_e64 s5, v15, v13
	s_or_b32 s4, s6, s7
	s_and_b32 s0, s3, s2
	s_or_b32 s6, s8, s9
	v_cndmask_b32_e32 v28, v12, v14, vcc_lo
	s_and_b32 s2, s10, s6
	s_and_b32 s1, s5, s4
	s_delay_alu instid0(SALU_CYCLE_1)
	v_dual_cndmask_b32 v23, v22, v21, s0 :: v_dual_cndmask_b32 v26, v19, v24, s1
	v_dual_cndmask_b32 v27, v8, v20, s2 :: v_dual_cndmask_b32 v1, v7, v1, vcc_lo
	v_dual_cndmask_b32 v7, v14, v12, vcc_lo :: v_dual_cndmask_b32 v12, v17, v25, s0
	v_dual_cndmask_b32 v19, v24, v19, s1 :: v_dual_cndmask_b32 v14, v21, v22, s0
	v_dual_cndmask_b32 v17, v25, v17, s0 :: v_dual_cndmask_b32 v20, v20, v8, s2
	;; [unrolled: 1-line block ×4, first 2 shown]
	v_cmp_nlt_f32_e32 vcc_lo, v23, v18
	v_cmp_neq_f32_e64 s2, v12, v28
	v_cmp_nlt_f32_e64 s1, v12, v28
	v_cmp_neq_f32_e64 s3, v13, v17
	v_cmp_nlt_f32_e64 s4, v19, v14
	v_cmp_nlt_f32_e64 s0, v27, v26
	s_or_b32 s2, s2, vcc_lo
	v_cmp_nlt_f32_e64 s6, v13, v17
	s_and_b32 vcc_lo, s1, s2
	s_or_b32 s3, s3, s4
	v_cndmask_b32_e32 v22, v23, v18, vcc_lo
	v_cmp_neq_f32_e64 s5, v15, v21
	v_cmp_nlt_f32_e64 s7, v15, v21
	v_dual_cndmask_b32 v29, v12, v28 :: v_dual_cndmask_b32 v18, v18, v23
	s_or_b32 s4, s5, s0
	s_and_b32 s0, s6, s3
	s_and_b32 s1, s7, s4
	s_delay_alu instid0(SALU_CYCLE_1) | instskip(SKIP_4) | instid1(VALU_DEP_4)
	v_dual_cndmask_b32 v24, v19, v14, s0 :: v_dual_cndmask_b32 v25, v26, v27, s1
	v_dual_cndmask_b32 v12, v28, v12, vcc_lo :: v_dual_cndmask_b32 v23, v13, v17, s0
	v_dual_cndmask_b32 v14, v14, v19, s0 :: v_dual_cndmask_b32 v17, v17, v13, s0
	v_dual_cndmask_b32 v19, v21, v15, s1 :: v_dual_cndmask_b32 v26, v27, v26, s1
	v_cndmask_b32_e64 v15, v15, v21, s1
	v_cmp_neq_f32_e64 s4, v23, v12
	v_cmp_nlt_f32_e64 s5, v24, v18
	v_cmp_nlt_f32_e64 s0, v20, v25
	;; [unrolled: 1-line block ×3, first 2 shown]
	v_cmp_neq_f32_e64 s7, v15, v17
	v_cmp_nlt_f32_e64 s8, v26, v14
	v_cmp_neq_f32_e64 s9, v16, v19
	s_or_b32 s4, s4, s5
	v_cmp_nlt_f32_e32 vcc_lo, v22, v1
	v_cmp_neq_f32_e64 s2, v29, v7
	s_or_b32 s5, s7, s8
	s_or_b32 s7, s9, s0
	s_and_b32 s0, s3, s4
	v_cmp_nlt_f32_e64 s1, v29, v7
	v_cndmask_b32_e64 v21, v24, v18, s0
	v_cmp_nlt_f32_e64 s6, v15, v17
	v_cmp_nlt_f32_e64 s10, v16, v19
	s_or_b32 s2, s2, vcc_lo
	s_delay_alu instid0(SALU_CYCLE_1) | instskip(SKIP_2) | instid1(SALU_CYCLE_1)
	s_and_b32 vcc_lo, s1, s2
	s_and_b32 s1, s6, s5
	s_and_b32 s2, s10, s7
	v_dual_cndmask_b32 v9, v22, v1, vcc_lo :: v_dual_cndmask_b32 v13, v25, v20, s2
	v_dual_cndmask_b32 v27, v26, v14, s1 :: v_dual_cndmask_b32 v8, v29, v7, vcc_lo
	v_dual_cndmask_b32 v1, v1, v22, vcc_lo :: v_dual_cndmask_b32 v7, v7, v29, vcc_lo
	v_cndmask_b32_e64 v22, v23, v12, s0
	v_dual_cndmask_b32 v18, v18, v24, s0 :: v_dual_cndmask_b32 v28, v15, v17, s1
	v_dual_cndmask_b32 v24, v12, v23, s0 :: v_dual_cndmask_b32 v26, v14, v26, s1
	v_cndmask_b32_e64 v29, v17, v15, s1
	s_delay_alu instid0(VALU_DEP_4)
	v_cmp_neq_f32_e64 s0, v22, v7
	v_cmp_nlt_f32_e64 s1, v21, v1
	v_cmp_nlt_f32_e32 vcc_lo, v22, v7
	v_dual_cndmask_b32 v12, v19, v16, s2 :: v_dual_cndmask_b32 v25, v20, v25, s2
	v_cmp_nlt_f32_e64 s3, v27, v18
	s_or_b32 s0, s0, s1
	v_cmp_nlt_f32_e64 s6, v28, v24
	s_and_b32 vcc_lo, vcc_lo, s0
	s_delay_alu instid0(SALU_CYCLE_1) | instskip(SKIP_3) | instid1(VALU_DEP_4)
	v_dual_cndmask_b32 v30, v16, v19, s2 :: v_dual_cndmask_b32 v15, v21, v1, vcc_lo
	v_cmp_neq_f32_e64 s2, v28, v24
	v_cmp_nlt_f32_e64 s5, v25, v26
	v_cndmask_b32_e32 v14, v22, v7, vcc_lo
	v_cmp_neq_f32_e64 s4, v30, v29
	v_cmp_nlt_f32_e64 s7, v30, v29
	s_or_b32 s1, s2, s3
	v_dual_cndmask_b32 v21, v1, v21 :: v_dual_cndmask_b32 v20, v7, v22
	s_or_b32 s2, s4, s5
	s_and_b32 s0, s6, s1
	s_and_b32 s1, s7, s2
	v_cndmask_b32_e64 v17, v27, v18, s0
	v_dual_cndmask_b32 v19, v25, v26, s1 :: v_dual_cndmask_b32 v16, v28, v24, s0
	v_dual_cndmask_b32 v23, v18, v27, s0 :: v_dual_cndmask_b32 v22, v24, v28, s0
	;; [unrolled: 1-line block ×3, first 2 shown]
	v_cndmask_b32_e64 v25, v26, v25, s1
	s_mov_b32 s0, exec_lo
	ds_store_2addr_b64 v36, v[8:9], v[14:15] offset1:1
	ds_store_2addr_b64 v36, v[20:21], v[16:17] offset0:2 offset1:3
	ds_store_2addr_b64 v36, v[22:23], v[18:19] offset0:4 offset1:5
	;; [unrolled: 1-line block ×3, first 2 shown]
	; wave barrier
	v_cmpx_lt_i32_e32 0, v0
	s_cbranch_execz .LBB24_8
; %bb.1:
	v_lshl_add_u32 v1, v6, 3, v5
	v_mov_b32_e32 v11, v3
                                        ; implicit-def: $sgpr1
	s_branch .LBB24_4
.LBB24_2:                               ;   in Loop: Header=BB24_4 Depth=1
	s_or_b32 exec_lo, exec_lo, s4
	s_delay_alu instid0(SALU_CYCLE_1) | instskip(SKIP_1) | instid1(SALU_CYCLE_1)
	s_and_not1_b32 s1, s1, exec_lo
	s_and_b32 s3, s3, exec_lo
	s_or_b32 s1, s1, s3
.LBB24_3:                               ;   in Loop: Header=BB24_4 Depth=1
	s_or_b32 exec_lo, exec_lo, s2
	v_dual_add_nc_u32 v8, 1, v7 :: v_dual_cndmask_b32 v0, v0, v7, s1
	s_delay_alu instid0(VALU_DEP_1) | instskip(NEXT) | instid1(VALU_DEP_1)
	v_cndmask_b32_e64 v11, v8, v11, s1
	v_cmp_ge_i32_e32 vcc_lo, v11, v0
	s_or_b32 s11, vcc_lo, s11
	s_delay_alu instid0(SALU_CYCLE_1)
	s_and_not1_b32 exec_lo, exec_lo, s11
	s_cbranch_execz .LBB24_7
.LBB24_4:                               ; =>This Inner Loop Header: Depth=1
	s_delay_alu instid0(VALU_DEP_1) | instskip(SKIP_2) | instid1(VALU_DEP_1)
	v_sub_nc_u32_e32 v7, v0, v11
	s_or_b32 s1, s1, exec_lo
	s_mov_b32 s2, exec_lo
	v_lshrrev_b32_e32 v7, 1, v7
	s_delay_alu instid0(VALU_DEP_1) | instskip(NEXT) | instid1(VALU_DEP_1)
	v_add_nc_u32_e32 v7, v7, v11
	v_not_b32_e32 v9, v7
	v_lshl_add_u32 v8, v7, 3, v5
	s_delay_alu instid0(VALU_DEP_2)
	v_lshl_add_u32 v9, v9, 3, v1
	ds_load_b32 v12, v8
	ds_load_b32 v13, v9 offset:64
	s_wait_dscnt 0x0
	v_cmpx_nlt_f32_e32 v13, v12
	s_cbranch_execz .LBB24_3
; %bb.5:                                ;   in Loop: Header=BB24_4 Depth=1
	s_mov_b32 s3, 0
	s_mov_b32 s4, exec_lo
	v_cmpx_eq_f32_e32 v13, v12
	s_cbranch_execz .LBB24_2
; %bb.6:                                ;   in Loop: Header=BB24_4 Depth=1
	ds_load_b32 v9, v9 offset:68
	ds_load_b32 v8, v8 offset:4
	s_wait_dscnt 0x0
	v_cmp_lt_f32_e32 vcc_lo, v9, v8
	s_and_b32 s3, vcc_lo, exec_lo
	s_branch .LBB24_2
.LBB24_7:
	s_or_b32 exec_lo, exec_lo, s11
.LBB24_8:
	s_delay_alu instid0(SALU_CYCLE_1) | instskip(SKIP_4) | instid1(VALU_DEP_3)
	s_or_b32 exec_lo, exec_lo, s0
	v_add_nc_u64_e32 v[0:1], s[12:13], v[2:3]
	v_dual_add_nc_u32 v2, v10, v6 :: v_dual_add_nc_u32 v6, v37, v6
	v_mul_u32_u24_e32 v34, 0x808, v4
	v_lshl_add_u32 v8, v11, 3, v5
	v_dual_add_nc_u32 v38, 16, v10 :: v_dual_sub_nc_u32 v2, v2, v11
	s_delay_alu instid0(VALU_DEP_4) | instskip(SKIP_1) | instid1(VALU_DEP_2)
	v_sub_nc_u32_e32 v12, v6, v11
	s_mov_b32 s0, exec_lo
	v_lshl_add_u32 v13, v2, 3, v34
	ds_load_b64 v[2:3], v8
	ds_load_b64 v[4:5], v13 offset:64
	v_cmpx_le_i32_e64 v38, v12
	s_xor_b32 s0, exec_lo, s0
	s_delay_alu instid0(SALU_CYCLE_1)
	s_or_saveexec_b32 s2, s0
	s_mov_b32 s1, 0
	s_xor_b32 exec_lo, exec_lo, s2
	s_cbranch_execz .LBB24_14
; %bb.9:
	v_cmp_gt_i32_e32 vcc_lo, 8, v11
	s_wait_dscnt 0x0
	v_cmp_nlt_f32_e64 s0, v4, v2
	s_mov_b32 s1, -1
	s_and_b32 s3, vcc_lo, s0
	s_delay_alu instid0(SALU_CYCLE_1)
	s_and_saveexec_b32 s0, s3
	s_cbranch_execz .LBB24_13
; %bb.10:
	s_mov_b32 s1, 0
	s_mov_b32 s3, exec_lo
	v_cmpx_eq_f32_e32 v4, v2
; %bb.11:
	v_cmp_lt_f32_e32 vcc_lo, v5, v3
	s_and_b32 s1, vcc_lo, exec_lo
; %bb.12:
	s_or_b32 exec_lo, exec_lo, s3
	s_delay_alu instid0(SALU_CYCLE_1)
	s_or_not1_b32 s1, s1, exec_lo
.LBB24_13:
	s_or_b32 exec_lo, exec_lo, s0
	s_delay_alu instid0(SALU_CYCLE_1)
	s_and_b32 s1, s1, exec_lo
.LBB24_14:
	s_or_b32 exec_lo, exec_lo, s2
	s_xor_b32 s0, s1, -1
                                        ; implicit-def: $vgpr6_vgpr7
	s_delay_alu instid0(SALU_CYCLE_1) | instskip(NEXT) | instid1(SALU_CYCLE_1)
	s_and_saveexec_b32 s2, s0
	s_xor_b32 s0, exec_lo, s2
; %bb.15:
	ds_load_b64 v[6:7], v8 offset:8
                                        ; implicit-def: $vgpr13
; %bb.16:
	s_or_saveexec_b32 s0, s0
	s_wait_dscnt 0x0
	v_mov_b64_e32 v[8:9], v[4:5]
	s_xor_b32 exec_lo, exec_lo, s0
; %bb.17:
	ds_load_b64 v[8:9], v13 offset:72
	v_mov_b64_e32 v[6:7], v[2:3]
; %bb.18:
	s_or_b32 exec_lo, exec_lo, s0
	v_dual_add_nc_u32 v10, v11, v10 :: v_dual_add_nc_u32 v11, 1, v12
	s_mov_b32 s2, 0
	s_mov_b32 s3, exec_lo
	s_delay_alu instid0(VALU_DEP_1) | instskip(NEXT) | instid1(VALU_DEP_1)
	v_dual_add_nc_u32 v13, 1, v10 :: v_dual_cndmask_b32 v15, v12, v11, s1
	v_cndmask_b32_e64 v14, v13, v10, s1
	s_delay_alu instid0(VALU_DEP_2)
	v_cmpx_lt_i32_e64 v15, v38
	s_cbranch_execz .LBB24_24
; %bb.19:
	s_delay_alu instid0(VALU_DEP_2) | instskip(SKIP_4) | instid1(SALU_CYCLE_1)
	v_cmp_lt_i32_e32 vcc_lo, v14, v37
	s_wait_dscnt 0x0
	v_cmp_nlt_f32_e64 s0, v8, v6
	s_mov_b32 s2, -1
	s_and_b32 s4, vcc_lo, s0
	s_and_saveexec_b32 s0, s4
	s_cbranch_execz .LBB24_23
; %bb.20:
	s_mov_b32 s2, 0
	s_mov_b32 s4, exec_lo
	v_cmpx_eq_f32_e32 v8, v6
; %bb.21:
	v_cmp_lt_f32_e32 vcc_lo, v9, v7
	s_and_b32 s2, vcc_lo, exec_lo
; %bb.22:
	s_or_b32 exec_lo, exec_lo, s4
	s_delay_alu instid0(SALU_CYCLE_1)
	s_or_not1_b32 s2, s2, exec_lo
.LBB24_23:
	s_or_b32 exec_lo, exec_lo, s0
	s_delay_alu instid0(SALU_CYCLE_1)
	s_and_b32 s2, s2, exec_lo
.LBB24_24:
	s_or_b32 exec_lo, exec_lo, s3
	s_xor_b32 s0, s2, -1
                                        ; implicit-def: $vgpr10_vgpr11
	s_delay_alu instid0(SALU_CYCLE_1) | instskip(NEXT) | instid1(SALU_CYCLE_1)
	s_and_saveexec_b32 s3, s0
	s_xor_b32 s0, exec_lo, s3
; %bb.25:
	v_lshl_add_u32 v10, v14, 3, v34
	ds_load_b64 v[10:11], v10 offset:8
; %bb.26:
	s_or_saveexec_b32 s0, s0
	s_wait_dscnt 0x0
	v_mov_b64_e32 v[12:13], v[8:9]
	s_xor_b32 exec_lo, exec_lo, s0
; %bb.27:
	v_lshl_add_u32 v10, v15, 3, v34
	ds_load_b64 v[12:13], v10 offset:8
	v_mov_b64_e32 v[10:11], v[6:7]
; %bb.28:
	s_or_b32 exec_lo, exec_lo, s0
	v_add_nc_u32_e32 v16, 1, v15
	s_mov_b32 s0, exec_lo
	s_delay_alu instid0(VALU_DEP_1) | instskip(NEXT) | instid1(VALU_DEP_1)
	v_dual_cndmask_b32 v18, v15, v16, s2 :: v_dual_add_nc_u32 v15, 1, v14
	v_cmpx_ge_i32_e64 v18, v38
	s_xor_b32 s0, exec_lo, s0
	s_delay_alu instid0(SALU_CYCLE_1) | instskip(NEXT) | instid1(VALU_DEP_2)
	s_or_saveexec_b32 s4, s0
	v_cndmask_b32_e64 v19, v15, v14, s2
	s_mov_b32 s3, 0
	s_xor_b32 exec_lo, exec_lo, s4
	s_cbranch_execz .LBB24_34
; %bb.29:
	s_delay_alu instid0(VALU_DEP_1) | instskip(SKIP_4) | instid1(SALU_CYCLE_1)
	v_cmp_lt_i32_e32 vcc_lo, v19, v37
	s_wait_dscnt 0x0
	v_cmp_nlt_f32_e64 s0, v12, v10
	s_mov_b32 s3, -1
	s_and_b32 s5, vcc_lo, s0
	s_and_saveexec_b32 s0, s5
	s_cbranch_execz .LBB24_33
; %bb.30:
	s_mov_b32 s3, 0
	s_mov_b32 s5, exec_lo
	v_cmpx_eq_f32_e32 v12, v10
; %bb.31:
	v_cmp_lt_f32_e32 vcc_lo, v13, v11
	s_and_b32 s3, vcc_lo, exec_lo
; %bb.32:
	s_or_b32 exec_lo, exec_lo, s5
	s_delay_alu instid0(SALU_CYCLE_1)
	s_or_not1_b32 s3, s3, exec_lo
.LBB24_33:
	s_or_b32 exec_lo, exec_lo, s0
	s_delay_alu instid0(SALU_CYCLE_1)
	s_and_b32 s3, s3, exec_lo
.LBB24_34:
	s_or_b32 exec_lo, exec_lo, s4
	s_xor_b32 s0, s3, -1
                                        ; implicit-def: $vgpr14_vgpr15
	s_delay_alu instid0(SALU_CYCLE_1) | instskip(NEXT) | instid1(SALU_CYCLE_1)
	s_and_saveexec_b32 s4, s0
	s_xor_b32 s0, exec_lo, s4
; %bb.35:
	v_lshl_add_u32 v14, v19, 3, v34
	ds_load_b64 v[14:15], v14 offset:8
; %bb.36:
	s_or_saveexec_b32 s0, s0
	s_wait_dscnt 0x0
	v_mov_b64_e32 v[16:17], v[12:13]
	s_xor_b32 exec_lo, exec_lo, s0
; %bb.37:
	v_lshl_add_u32 v14, v18, 3, v34
	ds_load_b64 v[16:17], v14 offset:8
	v_mov_b64_e32 v[14:15], v[10:11]
; %bb.38:
	s_or_b32 exec_lo, exec_lo, s0
	v_dual_add_nc_u32 v20, 1, v18 :: v_dual_add_nc_u32 v21, 1, v19
	s_mov_b32 s4, 0
	s_mov_b32 s5, exec_lo
	s_delay_alu instid0(VALU_DEP_1) | instskip(NEXT) | instid1(VALU_DEP_1)
	v_dual_cndmask_b32 v23, v18, v20, s3 :: v_dual_cndmask_b32 v22, v21, v19, s3
	v_cmpx_lt_i32_e64 v23, v38
	s_cbranch_execz .LBB24_44
; %bb.39:
	s_delay_alu instid0(VALU_DEP_2) | instskip(SKIP_4) | instid1(SALU_CYCLE_1)
	v_cmp_lt_i32_e32 vcc_lo, v22, v37
	s_wait_dscnt 0x0
	v_cmp_nlt_f32_e64 s0, v16, v14
	s_mov_b32 s4, -1
	s_and_b32 s6, vcc_lo, s0
	s_and_saveexec_b32 s0, s6
	s_cbranch_execz .LBB24_43
; %bb.40:
	s_mov_b32 s4, 0
	s_mov_b32 s6, exec_lo
	v_cmpx_eq_f32_e32 v16, v14
; %bb.41:
	v_cmp_lt_f32_e32 vcc_lo, v17, v15
	s_and_b32 s4, vcc_lo, exec_lo
; %bb.42:
	s_or_b32 exec_lo, exec_lo, s6
	s_delay_alu instid0(SALU_CYCLE_1)
	s_or_not1_b32 s4, s4, exec_lo
.LBB24_43:
	s_or_b32 exec_lo, exec_lo, s0
	s_delay_alu instid0(SALU_CYCLE_1)
	s_and_b32 s4, s4, exec_lo
.LBB24_44:
	s_or_b32 exec_lo, exec_lo, s5
	s_xor_b32 s0, s4, -1
                                        ; implicit-def: $vgpr18_vgpr19
	s_delay_alu instid0(SALU_CYCLE_1) | instskip(NEXT) | instid1(SALU_CYCLE_1)
	s_and_saveexec_b32 s5, s0
	s_xor_b32 s0, exec_lo, s5
; %bb.45:
	v_lshl_add_u32 v18, v22, 3, v34
	ds_load_b64 v[18:19], v18 offset:8
; %bb.46:
	s_or_saveexec_b32 s0, s0
	s_wait_dscnt 0x0
	v_mov_b64_e32 v[20:21], v[16:17]
	s_xor_b32 exec_lo, exec_lo, s0
; %bb.47:
	v_lshl_add_u32 v18, v23, 3, v34
	ds_load_b64 v[20:21], v18 offset:8
	v_mov_b64_e32 v[18:19], v[14:15]
; %bb.48:
	s_or_b32 exec_lo, exec_lo, s0
	v_add_nc_u32_e32 v24, 1, v23
	s_mov_b32 s0, exec_lo
	s_delay_alu instid0(VALU_DEP_1) | instskip(NEXT) | instid1(VALU_DEP_1)
	v_dual_cndmask_b32 v26, v23, v24, s4 :: v_dual_add_nc_u32 v23, 1, v22
	v_cmpx_ge_i32_e64 v26, v38
	s_xor_b32 s0, exec_lo, s0
	s_delay_alu instid0(SALU_CYCLE_1) | instskip(NEXT) | instid1(VALU_DEP_2)
	s_or_saveexec_b32 s6, s0
	v_cndmask_b32_e64 v27, v23, v22, s4
	s_mov_b32 s5, 0
	s_xor_b32 exec_lo, exec_lo, s6
	s_cbranch_execz .LBB24_54
; %bb.49:
	s_delay_alu instid0(VALU_DEP_1) | instskip(SKIP_4) | instid1(SALU_CYCLE_1)
	v_cmp_lt_i32_e32 vcc_lo, v27, v37
	s_wait_dscnt 0x0
	v_cmp_nlt_f32_e64 s0, v20, v18
	s_mov_b32 s5, -1
	s_and_b32 s7, vcc_lo, s0
	s_and_saveexec_b32 s0, s7
	s_cbranch_execz .LBB24_53
; %bb.50:
	s_mov_b32 s5, 0
	s_mov_b32 s7, exec_lo
	v_cmpx_eq_f32_e32 v20, v18
; %bb.51:
	v_cmp_lt_f32_e32 vcc_lo, v21, v19
	s_and_b32 s5, vcc_lo, exec_lo
; %bb.52:
	s_or_b32 exec_lo, exec_lo, s7
	s_delay_alu instid0(SALU_CYCLE_1)
	s_or_not1_b32 s5, s5, exec_lo
.LBB24_53:
	s_or_b32 exec_lo, exec_lo, s0
	s_delay_alu instid0(SALU_CYCLE_1)
	s_and_b32 s5, s5, exec_lo
.LBB24_54:
	s_or_b32 exec_lo, exec_lo, s6
	s_xor_b32 s0, s5, -1
                                        ; implicit-def: $vgpr22_vgpr23
	s_delay_alu instid0(SALU_CYCLE_1) | instskip(NEXT) | instid1(SALU_CYCLE_1)
	s_and_saveexec_b32 s6, s0
	s_xor_b32 s0, exec_lo, s6
; %bb.55:
	v_lshl_add_u32 v22, v27, 3, v34
	ds_load_b64 v[22:23], v22 offset:8
; %bb.56:
	s_or_saveexec_b32 s0, s0
	s_wait_dscnt 0x0
	v_mov_b64_e32 v[24:25], v[20:21]
	s_xor_b32 exec_lo, exec_lo, s0
; %bb.57:
	v_lshl_add_u32 v22, v26, 3, v34
	ds_load_b64 v[24:25], v22 offset:8
	v_mov_b64_e32 v[22:23], v[18:19]
; %bb.58:
	s_or_b32 exec_lo, exec_lo, s0
	v_dual_add_nc_u32 v28, 1, v26 :: v_dual_add_nc_u32 v29, 1, v27
	s_mov_b32 s6, 0
	s_mov_b32 s7, exec_lo
	s_delay_alu instid0(VALU_DEP_1) | instskip(NEXT) | instid1(VALU_DEP_1)
	v_dual_cndmask_b32 v31, v26, v28, s5 :: v_dual_cndmask_b32 v30, v29, v27, s5
	v_cmpx_lt_i32_e64 v31, v38
	s_cbranch_execz .LBB24_64
; %bb.59:
	s_delay_alu instid0(VALU_DEP_2) | instskip(SKIP_4) | instid1(SALU_CYCLE_1)
	v_cmp_lt_i32_e32 vcc_lo, v30, v37
	s_wait_dscnt 0x0
	v_cmp_nlt_f32_e64 s0, v24, v22
	s_mov_b32 s6, -1
	s_and_b32 s8, vcc_lo, s0
	s_and_saveexec_b32 s0, s8
	s_cbranch_execz .LBB24_63
; %bb.60:
	s_mov_b32 s6, 0
	s_mov_b32 s8, exec_lo
	v_cmpx_eq_f32_e32 v24, v22
; %bb.61:
	v_cmp_lt_f32_e32 vcc_lo, v25, v23
	s_and_b32 s6, vcc_lo, exec_lo
; %bb.62:
	s_or_b32 exec_lo, exec_lo, s8
	s_delay_alu instid0(SALU_CYCLE_1)
	s_or_not1_b32 s6, s6, exec_lo
.LBB24_63:
	s_or_b32 exec_lo, exec_lo, s0
	s_delay_alu instid0(SALU_CYCLE_1)
	s_and_b32 s6, s6, exec_lo
.LBB24_64:
	s_or_b32 exec_lo, exec_lo, s7
	s_xor_b32 s0, s6, -1
                                        ; implicit-def: $vgpr26_vgpr27
	s_delay_alu instid0(SALU_CYCLE_1) | instskip(NEXT) | instid1(SALU_CYCLE_1)
	s_and_saveexec_b32 s7, s0
	s_xor_b32 s0, exec_lo, s7
; %bb.65:
	v_lshl_add_u32 v26, v30, 3, v34
	ds_load_b64 v[26:27], v26 offset:8
; %bb.66:
	s_or_saveexec_b32 s0, s0
	s_wait_dscnt 0x0
	v_mov_b64_e32 v[28:29], v[24:25]
	s_xor_b32 exec_lo, exec_lo, s0
; %bb.67:
	v_lshl_add_u32 v26, v31, 3, v34
	ds_load_b64 v[28:29], v26 offset:8
	v_mov_b64_e32 v[26:27], v[22:23]
; %bb.68:
	s_or_b32 exec_lo, exec_lo, s0
	v_add_nc_u32_e32 v32, 1, v31
	s_mov_b32 s0, exec_lo
	s_delay_alu instid0(VALU_DEP_1) | instskip(NEXT) | instid1(VALU_DEP_1)
	v_dual_cndmask_b32 v39, v31, v32, s6 :: v_dual_add_nc_u32 v31, 1, v30
	v_cmpx_ge_i32_e64 v39, v38
	s_xor_b32 s0, exec_lo, s0
	s_delay_alu instid0(SALU_CYCLE_1) | instskip(NEXT) | instid1(VALU_DEP_2)
	s_or_saveexec_b32 s8, s0
	v_cndmask_b32_e64 v40, v31, v30, s6
	s_mov_b32 s7, 0
	s_xor_b32 exec_lo, exec_lo, s8
	s_cbranch_execz .LBB24_74
; %bb.69:
	s_delay_alu instid0(VALU_DEP_1) | instskip(SKIP_4) | instid1(SALU_CYCLE_1)
	v_cmp_lt_i32_e32 vcc_lo, v40, v37
	s_wait_dscnt 0x0
	v_cmp_nlt_f32_e64 s0, v28, v26
	s_mov_b32 s7, -1
	s_and_b32 s9, vcc_lo, s0
	s_and_saveexec_b32 s0, s9
	s_cbranch_execz .LBB24_73
; %bb.70:
	s_mov_b32 s7, 0
	s_mov_b32 s9, exec_lo
	v_cmpx_eq_f32_e32 v28, v26
; %bb.71:
	v_cmp_lt_f32_e32 vcc_lo, v29, v27
	s_and_b32 s7, vcc_lo, exec_lo
; %bb.72:
	s_or_b32 exec_lo, exec_lo, s9
	s_delay_alu instid0(SALU_CYCLE_1)
	s_or_not1_b32 s7, s7, exec_lo
.LBB24_73:
	s_or_b32 exec_lo, exec_lo, s0
	s_delay_alu instid0(SALU_CYCLE_1)
	s_and_b32 s7, s7, exec_lo
.LBB24_74:
	s_or_b32 exec_lo, exec_lo, s8
	s_xor_b32 s0, s7, -1
                                        ; implicit-def: $vgpr30_vgpr31
	s_delay_alu instid0(SALU_CYCLE_1) | instskip(NEXT) | instid1(SALU_CYCLE_1)
	s_and_saveexec_b32 s8, s0
	s_xor_b32 s0, exec_lo, s8
; %bb.75:
	v_lshl_add_u32 v30, v40, 3, v34
	ds_load_b64 v[30:31], v30 offset:8
; %bb.76:
	s_or_saveexec_b32 s0, s0
	s_wait_dscnt 0x0
	v_mov_b64_e32 v[32:33], v[28:29]
	s_xor_b32 exec_lo, exec_lo, s0
; %bb.77:
	v_lshl_add_u32 v30, v39, 3, v34
	ds_load_b64 v[32:33], v30 offset:8
	v_mov_b64_e32 v[30:31], v[26:27]
; %bb.78:
	s_or_b32 exec_lo, exec_lo, s0
	v_add_nc_u32_e32 v41, 1, v39
	s_mov_b32 s0, 0
	s_mov_b32 s8, exec_lo
	s_delay_alu instid0(VALU_DEP_1) | instskip(NEXT) | instid1(VALU_DEP_1)
	v_cndmask_b32_e64 v39, v39, v41, s7
	v_cmpx_lt_i32_e64 v39, v38
	s_cbranch_execz .LBB24_84
; %bb.79:
	v_add_nc_u32_e32 v38, 1, v40
	s_wait_dscnt 0x0
	v_cmp_nlt_f32_e32 vcc_lo, v32, v30
	s_mov_b32 s9, -1
	s_delay_alu instid0(VALU_DEP_2) | instskip(NEXT) | instid1(VALU_DEP_1)
	v_cndmask_b32_e64 v38, v38, v40, s7
	v_cmp_lt_i32_e64 s0, v38, v37
	s_and_b32 s10, s0, vcc_lo
	s_delay_alu instid0(SALU_CYCLE_1)
	s_and_saveexec_b32 s0, s10
	s_cbranch_execz .LBB24_83
; %bb.80:
	s_mov_b32 s9, 0
	s_mov_b32 s10, exec_lo
	v_cmpx_eq_f32_e32 v32, v30
; %bb.81:
	v_cmp_lt_f32_e32 vcc_lo, v33, v31
	s_and_b32 s9, vcc_lo, exec_lo
; %bb.82:
	s_or_b32 exec_lo, exec_lo, s10
	s_delay_alu instid0(SALU_CYCLE_1)
	s_or_not1_b32 s9, s9, exec_lo
.LBB24_83:
	s_or_b32 exec_lo, exec_lo, s0
	s_delay_alu instid0(SALU_CYCLE_1)
	s_and_b32 s0, s9, exec_lo
.LBB24_84:
	s_or_b32 exec_lo, exec_lo, s8
	v_dual_cndmask_b32 v17, v15, v17, s4 :: v_dual_cndmask_b32 v16, v14, v16, s4
	v_and_b32_e32 v15, 0xe0, v35
	v_dual_cndmask_b32 v9, v7, v9, s2 :: v_dual_cndmask_b32 v8, v6, v8, s2
	v_dual_cndmask_b32 v5, v3, v5, s1 :: v_dual_cndmask_b32 v4, v2, v4, s1
	v_and_b32_e32 v6, 24, v35
	s_delay_alu instid0(VALU_DEP_4) | instskip(SKIP_3) | instid1(VALU_DEP_3)
	v_dual_cndmask_b32 v23, v23, v25, s6 :: v_dual_bitop2_b32 v37, 16, v15 bitop3:0x54
	v_cndmask_b32_e64 v22, v22, v24, s6
	v_dual_cndmask_b32 v18, v18, v20, s5 :: v_dual_cndmask_b32 v19, v19, v21, s5
	s_wait_dscnt 0x0
	v_dual_sub_nc_u32 v2, v37, v15 :: v_dual_cndmask_b32 v21, v31, v33, s0
	v_dual_cndmask_b32 v12, v10, v12, s3 :: v_dual_cndmask_b32 v13, v11, v13, s3
	v_sub_nc_u32_e64 v10, v6, 16 clamp
	s_delay_alu instid0(VALU_DEP_3)
	v_min_i32_e32 v3, v6, v2
	v_lshl_add_u32 v2, v15, 3, v34
	v_dual_cndmask_b32 v26, v26, v28, s7 :: v_dual_cndmask_b32 v27, v27, v29, s7
	v_cndmask_b32_e64 v20, v30, v32, s0
	s_mov_b32 s0, exec_lo
	; wave barrier
	ds_store_2addr_b64 v36, v[4:5], v[8:9] offset1:1
	ds_store_2addr_b64 v36, v[12:13], v[16:17] offset0:2 offset1:3
	ds_store_2addr_b64 v36, v[18:19], v[22:23] offset0:4 offset1:5
	;; [unrolled: 1-line block ×3, first 2 shown]
	; wave barrier
	v_cmpx_lt_i32_e64 v10, v3
	s_cbranch_execz .LBB24_92
; %bb.85:
	v_lshl_add_u32 v4, v6, 3, v2
	s_mov_b32 s1, 0
                                        ; implicit-def: $sgpr2
	s_branch .LBB24_88
.LBB24_86:                              ;   in Loop: Header=BB24_88 Depth=1
	s_or_b32 exec_lo, exec_lo, s5
	s_delay_alu instid0(SALU_CYCLE_1) | instskip(SKIP_1) | instid1(SALU_CYCLE_1)
	s_and_not1_b32 s2, s2, exec_lo
	s_and_b32 s4, s4, exec_lo
	s_or_b32 s2, s2, s4
.LBB24_87:                              ;   in Loop: Header=BB24_88 Depth=1
	s_or_b32 exec_lo, exec_lo, s3
	v_dual_add_nc_u32 v7, 1, v5 :: v_dual_cndmask_b32 v3, v3, v5, s2
	s_delay_alu instid0(VALU_DEP_1) | instskip(NEXT) | instid1(VALU_DEP_1)
	v_cndmask_b32_e64 v10, v7, v10, s2
	v_cmp_ge_i32_e32 vcc_lo, v10, v3
	s_or_b32 s1, vcc_lo, s1
	s_delay_alu instid0(SALU_CYCLE_1)
	s_and_not1_b32 exec_lo, exec_lo, s1
	s_cbranch_execz .LBB24_91
.LBB24_88:                              ; =>This Inner Loop Header: Depth=1
	v_sub_nc_u32_e32 v5, v3, v10
	s_or_b32 s2, s2, exec_lo
	s_mov_b32 s3, exec_lo
	s_delay_alu instid0(VALU_DEP_1) | instskip(NEXT) | instid1(VALU_DEP_1)
	v_lshrrev_b32_e32 v5, 1, v5
	v_add_nc_u32_e32 v5, v5, v10
	s_delay_alu instid0(VALU_DEP_1) | instskip(SKIP_1) | instid1(VALU_DEP_2)
	v_not_b32_e32 v8, v5
	v_lshl_add_u32 v7, v5, 3, v2
	v_lshl_add_u32 v8, v8, 3, v4
	ds_load_b32 v9, v7
	ds_load_b32 v11, v8 offset:128
	s_wait_dscnt 0x0
	v_cmpx_nlt_f32_e32 v11, v9
	s_cbranch_execz .LBB24_87
; %bb.89:                               ;   in Loop: Header=BB24_88 Depth=1
	s_mov_b32 s4, 0
	s_mov_b32 s5, exec_lo
	v_cmpx_eq_f32_e32 v11, v9
	s_cbranch_execz .LBB24_86
; %bb.90:                               ;   in Loop: Header=BB24_88 Depth=1
	ds_load_b32 v8, v8 offset:132
	ds_load_b32 v7, v7 offset:4
	s_wait_dscnt 0x0
	v_cmp_lt_f32_e32 vcc_lo, v8, v7
	s_and_b32 s4, vcc_lo, exec_lo
	s_branch .LBB24_86
.LBB24_91:
	s_or_b32 exec_lo, exec_lo, s1
.LBB24_92:
	s_delay_alu instid0(SALU_CYCLE_1) | instskip(SKIP_3) | instid1(VALU_DEP_2)
	s_or_b32 exec_lo, exec_lo, s0
	v_dual_add_nc_u32 v3, v15, v6 :: v_dual_add_nc_u32 v6, v37, v6
	v_lshl_add_u32 v8, v10, 3, v2
	s_mov_b32 s0, exec_lo
	v_dual_add_nc_u32 v38, 32, v15 :: v_dual_sub_nc_u32 v3, v3, v10
	s_delay_alu instid0(VALU_DEP_3) | instskip(NEXT) | instid1(VALU_DEP_2)
	v_sub_nc_u32_e32 v11, v6, v10
	v_lshl_add_u32 v12, v3, 3, v34
	ds_load_b64 v[2:3], v8
	ds_load_b64 v[4:5], v12 offset:128
	v_cmpx_le_i32_e64 v38, v11
	s_xor_b32 s0, exec_lo, s0
	s_delay_alu instid0(SALU_CYCLE_1)
	s_or_saveexec_b32 s2, s0
	s_mov_b32 s1, 0
	s_xor_b32 exec_lo, exec_lo, s2
	s_cbranch_execz .LBB24_98
; %bb.93:
	v_cmp_gt_i32_e32 vcc_lo, 16, v10
	s_wait_dscnt 0x0
	v_cmp_nlt_f32_e64 s0, v4, v2
	s_mov_b32 s1, -1
	s_and_b32 s3, vcc_lo, s0
	s_delay_alu instid0(SALU_CYCLE_1)
	s_and_saveexec_b32 s0, s3
	s_cbranch_execz .LBB24_97
; %bb.94:
	s_mov_b32 s1, 0
	s_mov_b32 s3, exec_lo
	v_cmpx_eq_f32_e32 v4, v2
; %bb.95:
	v_cmp_lt_f32_e32 vcc_lo, v5, v3
	s_and_b32 s1, vcc_lo, exec_lo
; %bb.96:
	s_or_b32 exec_lo, exec_lo, s3
	s_delay_alu instid0(SALU_CYCLE_1)
	s_or_not1_b32 s1, s1, exec_lo
.LBB24_97:
	s_or_b32 exec_lo, exec_lo, s0
	s_delay_alu instid0(SALU_CYCLE_1)
	s_and_b32 s1, s1, exec_lo
.LBB24_98:
	s_or_b32 exec_lo, exec_lo, s2
	s_xor_b32 s0, s1, -1
                                        ; implicit-def: $vgpr6_vgpr7
	s_delay_alu instid0(SALU_CYCLE_1) | instskip(NEXT) | instid1(SALU_CYCLE_1)
	s_and_saveexec_b32 s2, s0
	s_xor_b32 s0, exec_lo, s2
; %bb.99:
	ds_load_b64 v[6:7], v8 offset:8
                                        ; implicit-def: $vgpr12
; %bb.100:
	s_or_saveexec_b32 s0, s0
	s_wait_dscnt 0x0
	v_mov_b64_e32 v[8:9], v[4:5]
	s_xor_b32 exec_lo, exec_lo, s0
; %bb.101:
	ds_load_b64 v[8:9], v12 offset:136
	v_mov_b64_e32 v[6:7], v[2:3]
; %bb.102:
	s_or_b32 exec_lo, exec_lo, s0
	v_add_nc_u32_e32 v12, 1, v11
	v_add_nc_u32_e32 v10, v10, v15
	s_mov_b32 s2, 0
	s_mov_b32 s3, exec_lo
	s_delay_alu instid0(VALU_DEP_1) | instskip(NEXT) | instid1(VALU_DEP_1)
	v_dual_cndmask_b32 v15, v11, v12, s1 :: v_dual_add_nc_u32 v13, 1, v10
	v_cndmask_b32_e64 v14, v13, v10, s1
	s_delay_alu instid0(VALU_DEP_2)
	v_cmpx_lt_i32_e64 v15, v38
	s_cbranch_execz .LBB24_108
; %bb.103:
	s_delay_alu instid0(VALU_DEP_2) | instskip(SKIP_4) | instid1(SALU_CYCLE_1)
	v_cmp_lt_i32_e32 vcc_lo, v14, v37
	s_wait_dscnt 0x0
	v_cmp_nlt_f32_e64 s0, v8, v6
	s_mov_b32 s2, -1
	s_and_b32 s4, vcc_lo, s0
	s_and_saveexec_b32 s0, s4
	s_cbranch_execz .LBB24_107
; %bb.104:
	s_mov_b32 s2, 0
	s_mov_b32 s4, exec_lo
	v_cmpx_eq_f32_e32 v8, v6
; %bb.105:
	v_cmp_lt_f32_e32 vcc_lo, v9, v7
	s_and_b32 s2, vcc_lo, exec_lo
; %bb.106:
	s_or_b32 exec_lo, exec_lo, s4
	s_delay_alu instid0(SALU_CYCLE_1)
	s_or_not1_b32 s2, s2, exec_lo
.LBB24_107:
	s_or_b32 exec_lo, exec_lo, s0
	s_delay_alu instid0(SALU_CYCLE_1)
	s_and_b32 s2, s2, exec_lo
.LBB24_108:
	s_or_b32 exec_lo, exec_lo, s3
	s_xor_b32 s0, s2, -1
                                        ; implicit-def: $vgpr10_vgpr11
	s_delay_alu instid0(SALU_CYCLE_1) | instskip(NEXT) | instid1(SALU_CYCLE_1)
	s_and_saveexec_b32 s3, s0
	s_xor_b32 s0, exec_lo, s3
; %bb.109:
	v_lshl_add_u32 v10, v14, 3, v34
	ds_load_b64 v[10:11], v10 offset:8
; %bb.110:
	s_or_saveexec_b32 s0, s0
	s_wait_dscnt 0x0
	v_mov_b64_e32 v[12:13], v[8:9]
	s_xor_b32 exec_lo, exec_lo, s0
; %bb.111:
	v_lshl_add_u32 v10, v15, 3, v34
	ds_load_b64 v[12:13], v10 offset:8
	v_mov_b64_e32 v[10:11], v[6:7]
; %bb.112:
	s_or_b32 exec_lo, exec_lo, s0
	v_add_nc_u32_e32 v16, 1, v15
	s_mov_b32 s0, exec_lo
	s_delay_alu instid0(VALU_DEP_1) | instskip(NEXT) | instid1(VALU_DEP_1)
	v_dual_cndmask_b32 v18, v15, v16, s2 :: v_dual_add_nc_u32 v15, 1, v14
	v_cmpx_ge_i32_e64 v18, v38
	s_xor_b32 s0, exec_lo, s0
	s_delay_alu instid0(SALU_CYCLE_1) | instskip(NEXT) | instid1(VALU_DEP_2)
	s_or_saveexec_b32 s4, s0
	v_cndmask_b32_e64 v19, v15, v14, s2
	s_mov_b32 s3, 0
	s_xor_b32 exec_lo, exec_lo, s4
	s_cbranch_execz .LBB24_118
; %bb.113:
	s_delay_alu instid0(VALU_DEP_1) | instskip(SKIP_4) | instid1(SALU_CYCLE_1)
	v_cmp_lt_i32_e32 vcc_lo, v19, v37
	s_wait_dscnt 0x0
	v_cmp_nlt_f32_e64 s0, v12, v10
	s_mov_b32 s3, -1
	s_and_b32 s5, vcc_lo, s0
	s_and_saveexec_b32 s0, s5
	s_cbranch_execz .LBB24_117
; %bb.114:
	s_mov_b32 s3, 0
	s_mov_b32 s5, exec_lo
	v_cmpx_eq_f32_e32 v12, v10
; %bb.115:
	v_cmp_lt_f32_e32 vcc_lo, v13, v11
	s_and_b32 s3, vcc_lo, exec_lo
; %bb.116:
	s_or_b32 exec_lo, exec_lo, s5
	s_delay_alu instid0(SALU_CYCLE_1)
	s_or_not1_b32 s3, s3, exec_lo
.LBB24_117:
	s_or_b32 exec_lo, exec_lo, s0
	s_delay_alu instid0(SALU_CYCLE_1)
	s_and_b32 s3, s3, exec_lo
.LBB24_118:
	s_or_b32 exec_lo, exec_lo, s4
	s_xor_b32 s0, s3, -1
                                        ; implicit-def: $vgpr14_vgpr15
	s_delay_alu instid0(SALU_CYCLE_1) | instskip(NEXT) | instid1(SALU_CYCLE_1)
	s_and_saveexec_b32 s4, s0
	s_xor_b32 s0, exec_lo, s4
; %bb.119:
	v_lshl_add_u32 v14, v19, 3, v34
	ds_load_b64 v[14:15], v14 offset:8
; %bb.120:
	s_or_saveexec_b32 s0, s0
	s_wait_dscnt 0x0
	v_mov_b64_e32 v[16:17], v[12:13]
	s_xor_b32 exec_lo, exec_lo, s0
; %bb.121:
	v_lshl_add_u32 v14, v18, 3, v34
	ds_load_b64 v[16:17], v14 offset:8
	v_mov_b64_e32 v[14:15], v[10:11]
; %bb.122:
	s_or_b32 exec_lo, exec_lo, s0
	v_dual_add_nc_u32 v20, 1, v18 :: v_dual_add_nc_u32 v21, 1, v19
	s_mov_b32 s4, 0
	s_mov_b32 s5, exec_lo
	s_delay_alu instid0(VALU_DEP_1) | instskip(NEXT) | instid1(VALU_DEP_1)
	v_dual_cndmask_b32 v23, v18, v20, s3 :: v_dual_cndmask_b32 v22, v21, v19, s3
	v_cmpx_lt_i32_e64 v23, v38
	s_cbranch_execz .LBB24_128
; %bb.123:
	s_delay_alu instid0(VALU_DEP_2) | instskip(SKIP_4) | instid1(SALU_CYCLE_1)
	v_cmp_lt_i32_e32 vcc_lo, v22, v37
	s_wait_dscnt 0x0
	v_cmp_nlt_f32_e64 s0, v16, v14
	s_mov_b32 s4, -1
	s_and_b32 s6, vcc_lo, s0
	s_and_saveexec_b32 s0, s6
	s_cbranch_execz .LBB24_127
; %bb.124:
	s_mov_b32 s4, 0
	s_mov_b32 s6, exec_lo
	v_cmpx_eq_f32_e32 v16, v14
; %bb.125:
	v_cmp_lt_f32_e32 vcc_lo, v17, v15
	s_and_b32 s4, vcc_lo, exec_lo
; %bb.126:
	s_or_b32 exec_lo, exec_lo, s6
	s_delay_alu instid0(SALU_CYCLE_1)
	s_or_not1_b32 s4, s4, exec_lo
.LBB24_127:
	s_or_b32 exec_lo, exec_lo, s0
	s_delay_alu instid0(SALU_CYCLE_1)
	s_and_b32 s4, s4, exec_lo
.LBB24_128:
	s_or_b32 exec_lo, exec_lo, s5
	s_xor_b32 s0, s4, -1
                                        ; implicit-def: $vgpr18_vgpr19
	s_delay_alu instid0(SALU_CYCLE_1) | instskip(NEXT) | instid1(SALU_CYCLE_1)
	s_and_saveexec_b32 s5, s0
	s_xor_b32 s0, exec_lo, s5
; %bb.129:
	v_lshl_add_u32 v18, v22, 3, v34
	ds_load_b64 v[18:19], v18 offset:8
; %bb.130:
	s_or_saveexec_b32 s0, s0
	s_wait_dscnt 0x0
	v_mov_b64_e32 v[20:21], v[16:17]
	s_xor_b32 exec_lo, exec_lo, s0
; %bb.131:
	v_lshl_add_u32 v18, v23, 3, v34
	ds_load_b64 v[20:21], v18 offset:8
	v_mov_b64_e32 v[18:19], v[14:15]
; %bb.132:
	s_or_b32 exec_lo, exec_lo, s0
	v_add_nc_u32_e32 v24, 1, v23
	s_mov_b32 s0, exec_lo
	s_delay_alu instid0(VALU_DEP_1) | instskip(NEXT) | instid1(VALU_DEP_1)
	v_dual_cndmask_b32 v26, v23, v24, s4 :: v_dual_add_nc_u32 v23, 1, v22
	v_cmpx_ge_i32_e64 v26, v38
	s_xor_b32 s0, exec_lo, s0
	s_delay_alu instid0(SALU_CYCLE_1) | instskip(NEXT) | instid1(VALU_DEP_2)
	s_or_saveexec_b32 s6, s0
	v_cndmask_b32_e64 v27, v23, v22, s4
	s_mov_b32 s5, 0
	s_xor_b32 exec_lo, exec_lo, s6
	s_cbranch_execz .LBB24_138
; %bb.133:
	s_delay_alu instid0(VALU_DEP_1) | instskip(SKIP_4) | instid1(SALU_CYCLE_1)
	v_cmp_lt_i32_e32 vcc_lo, v27, v37
	s_wait_dscnt 0x0
	v_cmp_nlt_f32_e64 s0, v20, v18
	s_mov_b32 s5, -1
	s_and_b32 s7, vcc_lo, s0
	s_and_saveexec_b32 s0, s7
	s_cbranch_execz .LBB24_137
; %bb.134:
	s_mov_b32 s5, 0
	s_mov_b32 s7, exec_lo
	v_cmpx_eq_f32_e32 v20, v18
; %bb.135:
	v_cmp_lt_f32_e32 vcc_lo, v21, v19
	s_and_b32 s5, vcc_lo, exec_lo
; %bb.136:
	s_or_b32 exec_lo, exec_lo, s7
	s_delay_alu instid0(SALU_CYCLE_1)
	s_or_not1_b32 s5, s5, exec_lo
.LBB24_137:
	s_or_b32 exec_lo, exec_lo, s0
	s_delay_alu instid0(SALU_CYCLE_1)
	s_and_b32 s5, s5, exec_lo
.LBB24_138:
	s_or_b32 exec_lo, exec_lo, s6
	s_xor_b32 s0, s5, -1
                                        ; implicit-def: $vgpr22_vgpr23
	s_delay_alu instid0(SALU_CYCLE_1) | instskip(NEXT) | instid1(SALU_CYCLE_1)
	s_and_saveexec_b32 s6, s0
	s_xor_b32 s0, exec_lo, s6
; %bb.139:
	v_lshl_add_u32 v22, v27, 3, v34
	ds_load_b64 v[22:23], v22 offset:8
; %bb.140:
	s_or_saveexec_b32 s0, s0
	s_wait_dscnt 0x0
	v_mov_b64_e32 v[24:25], v[20:21]
	s_xor_b32 exec_lo, exec_lo, s0
; %bb.141:
	v_lshl_add_u32 v22, v26, 3, v34
	ds_load_b64 v[24:25], v22 offset:8
	v_mov_b64_e32 v[22:23], v[18:19]
; %bb.142:
	s_or_b32 exec_lo, exec_lo, s0
	v_dual_add_nc_u32 v28, 1, v26 :: v_dual_add_nc_u32 v29, 1, v27
	s_mov_b32 s6, 0
	s_mov_b32 s7, exec_lo
	s_delay_alu instid0(VALU_DEP_1) | instskip(NEXT) | instid1(VALU_DEP_1)
	v_dual_cndmask_b32 v31, v26, v28, s5 :: v_dual_cndmask_b32 v30, v29, v27, s5
	v_cmpx_lt_i32_e64 v31, v38
	s_cbranch_execz .LBB24_148
; %bb.143:
	s_delay_alu instid0(VALU_DEP_2) | instskip(SKIP_4) | instid1(SALU_CYCLE_1)
	v_cmp_lt_i32_e32 vcc_lo, v30, v37
	s_wait_dscnt 0x0
	v_cmp_nlt_f32_e64 s0, v24, v22
	s_mov_b32 s6, -1
	s_and_b32 s8, vcc_lo, s0
	s_and_saveexec_b32 s0, s8
	s_cbranch_execz .LBB24_147
; %bb.144:
	s_mov_b32 s6, 0
	s_mov_b32 s8, exec_lo
	v_cmpx_eq_f32_e32 v24, v22
; %bb.145:
	v_cmp_lt_f32_e32 vcc_lo, v25, v23
	s_and_b32 s6, vcc_lo, exec_lo
; %bb.146:
	s_or_b32 exec_lo, exec_lo, s8
	s_delay_alu instid0(SALU_CYCLE_1)
	s_or_not1_b32 s6, s6, exec_lo
.LBB24_147:
	s_or_b32 exec_lo, exec_lo, s0
	s_delay_alu instid0(SALU_CYCLE_1)
	s_and_b32 s6, s6, exec_lo
.LBB24_148:
	s_or_b32 exec_lo, exec_lo, s7
	s_xor_b32 s0, s6, -1
                                        ; implicit-def: $vgpr26_vgpr27
	s_delay_alu instid0(SALU_CYCLE_1) | instskip(NEXT) | instid1(SALU_CYCLE_1)
	s_and_saveexec_b32 s7, s0
	s_xor_b32 s0, exec_lo, s7
; %bb.149:
	v_lshl_add_u32 v26, v30, 3, v34
	ds_load_b64 v[26:27], v26 offset:8
; %bb.150:
	s_or_saveexec_b32 s0, s0
	s_wait_dscnt 0x0
	v_mov_b64_e32 v[28:29], v[24:25]
	s_xor_b32 exec_lo, exec_lo, s0
; %bb.151:
	v_lshl_add_u32 v26, v31, 3, v34
	ds_load_b64 v[28:29], v26 offset:8
	v_mov_b64_e32 v[26:27], v[22:23]
; %bb.152:
	s_or_b32 exec_lo, exec_lo, s0
	v_add_nc_u32_e32 v32, 1, v31
	s_mov_b32 s0, exec_lo
	s_delay_alu instid0(VALU_DEP_1) | instskip(NEXT) | instid1(VALU_DEP_1)
	v_dual_cndmask_b32 v39, v31, v32, s6 :: v_dual_add_nc_u32 v31, 1, v30
	v_cmpx_ge_i32_e64 v39, v38
	s_xor_b32 s0, exec_lo, s0
	s_delay_alu instid0(SALU_CYCLE_1) | instskip(NEXT) | instid1(VALU_DEP_2)
	s_or_saveexec_b32 s8, s0
	v_cndmask_b32_e64 v40, v31, v30, s6
	s_mov_b32 s7, 0
	s_xor_b32 exec_lo, exec_lo, s8
	s_cbranch_execz .LBB24_158
; %bb.153:
	s_delay_alu instid0(VALU_DEP_1) | instskip(SKIP_4) | instid1(SALU_CYCLE_1)
	v_cmp_lt_i32_e32 vcc_lo, v40, v37
	s_wait_dscnt 0x0
	v_cmp_nlt_f32_e64 s0, v28, v26
	s_mov_b32 s7, -1
	s_and_b32 s9, vcc_lo, s0
	s_and_saveexec_b32 s0, s9
	s_cbranch_execz .LBB24_157
; %bb.154:
	s_mov_b32 s7, 0
	s_mov_b32 s9, exec_lo
	v_cmpx_eq_f32_e32 v28, v26
; %bb.155:
	v_cmp_lt_f32_e32 vcc_lo, v29, v27
	s_and_b32 s7, vcc_lo, exec_lo
; %bb.156:
	s_or_b32 exec_lo, exec_lo, s9
	s_delay_alu instid0(SALU_CYCLE_1)
	s_or_not1_b32 s7, s7, exec_lo
.LBB24_157:
	s_or_b32 exec_lo, exec_lo, s0
	s_delay_alu instid0(SALU_CYCLE_1)
	s_and_b32 s7, s7, exec_lo
.LBB24_158:
	s_or_b32 exec_lo, exec_lo, s8
	s_xor_b32 s0, s7, -1
                                        ; implicit-def: $vgpr30_vgpr31
	s_delay_alu instid0(SALU_CYCLE_1) | instskip(NEXT) | instid1(SALU_CYCLE_1)
	s_and_saveexec_b32 s8, s0
	s_xor_b32 s0, exec_lo, s8
; %bb.159:
	v_lshl_add_u32 v30, v40, 3, v34
	ds_load_b64 v[30:31], v30 offset:8
; %bb.160:
	s_or_saveexec_b32 s0, s0
	s_wait_dscnt 0x0
	v_mov_b64_e32 v[32:33], v[28:29]
	s_xor_b32 exec_lo, exec_lo, s0
; %bb.161:
	v_lshl_add_u32 v30, v39, 3, v34
	ds_load_b64 v[32:33], v30 offset:8
	v_mov_b64_e32 v[30:31], v[26:27]
; %bb.162:
	s_or_b32 exec_lo, exec_lo, s0
	v_add_nc_u32_e32 v41, 1, v39
	s_mov_b32 s0, 0
	s_mov_b32 s8, exec_lo
	s_delay_alu instid0(VALU_DEP_1) | instskip(NEXT) | instid1(VALU_DEP_1)
	v_cndmask_b32_e64 v39, v39, v41, s7
	v_cmpx_lt_i32_e64 v39, v38
	s_cbranch_execz .LBB24_168
; %bb.163:
	v_add_nc_u32_e32 v38, 1, v40
	s_wait_dscnt 0x0
	v_cmp_nlt_f32_e32 vcc_lo, v32, v30
	s_mov_b32 s9, -1
	s_delay_alu instid0(VALU_DEP_2) | instskip(NEXT) | instid1(VALU_DEP_1)
	v_cndmask_b32_e64 v38, v38, v40, s7
	v_cmp_lt_i32_e64 s0, v38, v37
	s_and_b32 s10, s0, vcc_lo
	s_delay_alu instid0(SALU_CYCLE_1)
	s_and_saveexec_b32 s0, s10
	s_cbranch_execz .LBB24_167
; %bb.164:
	s_mov_b32 s9, 0
	s_mov_b32 s10, exec_lo
	v_cmpx_eq_f32_e32 v32, v30
; %bb.165:
	v_cmp_lt_f32_e32 vcc_lo, v33, v31
	s_and_b32 s9, vcc_lo, exec_lo
; %bb.166:
	s_or_b32 exec_lo, exec_lo, s10
	s_delay_alu instid0(SALU_CYCLE_1)
	s_or_not1_b32 s9, s9, exec_lo
.LBB24_167:
	s_or_b32 exec_lo, exec_lo, s0
	s_delay_alu instid0(SALU_CYCLE_1)
	s_and_b32 s0, s9, exec_lo
.LBB24_168:
	s_or_b32 exec_lo, exec_lo, s8
	v_dual_cndmask_b32 v17, v15, v17, s4 :: v_dual_cndmask_b32 v16, v14, v16, s4
	v_and_b32_e32 v15, 0xc0, v35
	v_dual_cndmask_b32 v9, v7, v9, s2 :: v_dual_cndmask_b32 v8, v6, v8, s2
	v_dual_cndmask_b32 v5, v3, v5, s1 :: v_dual_cndmask_b32 v4, v2, v4, s1
	v_and_b32_e32 v6, 56, v35
	s_delay_alu instid0(VALU_DEP_4) | instskip(SKIP_3) | instid1(VALU_DEP_3)
	v_dual_cndmask_b32 v23, v23, v25, s6 :: v_dual_bitop2_b32 v37, 32, v15 bitop3:0x54
	v_cndmask_b32_e64 v22, v22, v24, s6
	v_dual_cndmask_b32 v18, v18, v20, s5 :: v_dual_cndmask_b32 v19, v19, v21, s5
	s_wait_dscnt 0x0
	v_dual_sub_nc_u32 v2, v37, v15 :: v_dual_cndmask_b32 v21, v31, v33, s0
	v_dual_cndmask_b32 v12, v10, v12, s3 :: v_dual_cndmask_b32 v13, v11, v13, s3
	v_sub_nc_u32_e64 v10, v6, 32 clamp
	s_delay_alu instid0(VALU_DEP_3)
	v_min_i32_e32 v3, v6, v2
	v_lshl_add_u32 v2, v15, 3, v34
	v_dual_cndmask_b32 v26, v26, v28, s7 :: v_dual_cndmask_b32 v27, v27, v29, s7
	v_cndmask_b32_e64 v20, v30, v32, s0
	s_mov_b32 s0, exec_lo
	; wave barrier
	ds_store_2addr_b64 v36, v[4:5], v[8:9] offset1:1
	ds_store_2addr_b64 v36, v[12:13], v[16:17] offset0:2 offset1:3
	ds_store_2addr_b64 v36, v[18:19], v[22:23] offset0:4 offset1:5
	;; [unrolled: 1-line block ×3, first 2 shown]
	; wave barrier
	v_cmpx_lt_i32_e64 v10, v3
	s_cbranch_execz .LBB24_176
; %bb.169:
	v_lshl_add_u32 v4, v6, 3, v2
	s_mov_b32 s1, 0
                                        ; implicit-def: $sgpr2
	s_branch .LBB24_172
.LBB24_170:                             ;   in Loop: Header=BB24_172 Depth=1
	s_or_b32 exec_lo, exec_lo, s5
	s_delay_alu instid0(SALU_CYCLE_1) | instskip(SKIP_1) | instid1(SALU_CYCLE_1)
	s_and_not1_b32 s2, s2, exec_lo
	s_and_b32 s4, s4, exec_lo
	s_or_b32 s2, s2, s4
.LBB24_171:                             ;   in Loop: Header=BB24_172 Depth=1
	s_or_b32 exec_lo, exec_lo, s3
	v_dual_add_nc_u32 v7, 1, v5 :: v_dual_cndmask_b32 v3, v3, v5, s2
	s_delay_alu instid0(VALU_DEP_1) | instskip(NEXT) | instid1(VALU_DEP_1)
	v_cndmask_b32_e64 v10, v7, v10, s2
	v_cmp_ge_i32_e32 vcc_lo, v10, v3
	s_or_b32 s1, vcc_lo, s1
	s_delay_alu instid0(SALU_CYCLE_1)
	s_and_not1_b32 exec_lo, exec_lo, s1
	s_cbranch_execz .LBB24_175
.LBB24_172:                             ; =>This Inner Loop Header: Depth=1
	v_sub_nc_u32_e32 v5, v3, v10
	s_or_b32 s2, s2, exec_lo
	s_mov_b32 s3, exec_lo
	s_delay_alu instid0(VALU_DEP_1) | instskip(NEXT) | instid1(VALU_DEP_1)
	v_lshrrev_b32_e32 v5, 1, v5
	v_add_nc_u32_e32 v5, v5, v10
	s_delay_alu instid0(VALU_DEP_1) | instskip(SKIP_1) | instid1(VALU_DEP_2)
	v_not_b32_e32 v8, v5
	v_lshl_add_u32 v7, v5, 3, v2
	v_lshl_add_u32 v8, v8, 3, v4
	ds_load_b32 v9, v7
	ds_load_b32 v11, v8 offset:256
	s_wait_dscnt 0x0
	v_cmpx_nlt_f32_e32 v11, v9
	s_cbranch_execz .LBB24_171
; %bb.173:                              ;   in Loop: Header=BB24_172 Depth=1
	s_mov_b32 s4, 0
	s_mov_b32 s5, exec_lo
	v_cmpx_eq_f32_e32 v11, v9
	s_cbranch_execz .LBB24_170
; %bb.174:                              ;   in Loop: Header=BB24_172 Depth=1
	ds_load_b32 v8, v8 offset:260
	ds_load_b32 v7, v7 offset:4
	s_wait_dscnt 0x0
	v_cmp_lt_f32_e32 vcc_lo, v8, v7
	s_and_b32 s4, vcc_lo, exec_lo
	s_branch .LBB24_170
.LBB24_175:
	s_or_b32 exec_lo, exec_lo, s1
.LBB24_176:
	s_delay_alu instid0(SALU_CYCLE_1) | instskip(SKIP_3) | instid1(VALU_DEP_2)
	s_or_b32 exec_lo, exec_lo, s0
	v_dual_add_nc_u32 v3, v15, v6 :: v_dual_add_nc_u32 v6, v37, v6
	v_lshl_add_u32 v8, v10, 3, v2
	s_mov_b32 s0, exec_lo
	v_dual_add_nc_u32 v38, 64, v15 :: v_dual_sub_nc_u32 v3, v3, v10
	s_delay_alu instid0(VALU_DEP_3) | instskip(NEXT) | instid1(VALU_DEP_2)
	v_sub_nc_u32_e32 v11, v6, v10
	v_lshl_add_u32 v12, v3, 3, v34
	ds_load_b64 v[2:3], v8
	ds_load_b64 v[4:5], v12 offset:256
	v_cmpx_le_i32_e64 v38, v11
	s_xor_b32 s0, exec_lo, s0
	s_delay_alu instid0(SALU_CYCLE_1)
	s_or_saveexec_b32 s2, s0
	s_mov_b32 s1, 0
	s_xor_b32 exec_lo, exec_lo, s2
	s_cbranch_execz .LBB24_182
; %bb.177:
	v_cmp_gt_i32_e32 vcc_lo, 32, v10
	s_wait_dscnt 0x0
	v_cmp_nlt_f32_e64 s0, v4, v2
	s_mov_b32 s1, -1
	s_and_b32 s3, vcc_lo, s0
	s_delay_alu instid0(SALU_CYCLE_1)
	s_and_saveexec_b32 s0, s3
	s_cbranch_execz .LBB24_181
; %bb.178:
	s_mov_b32 s1, 0
	s_mov_b32 s3, exec_lo
	v_cmpx_eq_f32_e32 v4, v2
; %bb.179:
	v_cmp_lt_f32_e32 vcc_lo, v5, v3
	s_and_b32 s1, vcc_lo, exec_lo
; %bb.180:
	s_or_b32 exec_lo, exec_lo, s3
	s_delay_alu instid0(SALU_CYCLE_1)
	s_or_not1_b32 s1, s1, exec_lo
.LBB24_181:
	s_or_b32 exec_lo, exec_lo, s0
	s_delay_alu instid0(SALU_CYCLE_1)
	s_and_b32 s1, s1, exec_lo
.LBB24_182:
	s_or_b32 exec_lo, exec_lo, s2
	s_xor_b32 s0, s1, -1
                                        ; implicit-def: $vgpr6_vgpr7
	s_delay_alu instid0(SALU_CYCLE_1) | instskip(NEXT) | instid1(SALU_CYCLE_1)
	s_and_saveexec_b32 s2, s0
	s_xor_b32 s0, exec_lo, s2
; %bb.183:
	ds_load_b64 v[6:7], v8 offset:8
                                        ; implicit-def: $vgpr12
; %bb.184:
	s_or_saveexec_b32 s0, s0
	s_wait_dscnt 0x0
	v_mov_b64_e32 v[8:9], v[4:5]
	s_xor_b32 exec_lo, exec_lo, s0
; %bb.185:
	ds_load_b64 v[8:9], v12 offset:264
	v_mov_b64_e32 v[6:7], v[2:3]
; %bb.186:
	s_or_b32 exec_lo, exec_lo, s0
	v_add_nc_u32_e32 v12, 1, v11
	v_add_nc_u32_e32 v10, v10, v15
	s_mov_b32 s2, 0
	s_mov_b32 s3, exec_lo
	s_delay_alu instid0(VALU_DEP_1) | instskip(NEXT) | instid1(VALU_DEP_1)
	v_dual_cndmask_b32 v15, v11, v12, s1 :: v_dual_add_nc_u32 v13, 1, v10
	v_cndmask_b32_e64 v14, v13, v10, s1
	s_delay_alu instid0(VALU_DEP_2)
	v_cmpx_lt_i32_e64 v15, v38
	s_cbranch_execz .LBB24_192
; %bb.187:
	s_delay_alu instid0(VALU_DEP_2) | instskip(SKIP_4) | instid1(SALU_CYCLE_1)
	v_cmp_lt_i32_e32 vcc_lo, v14, v37
	s_wait_dscnt 0x0
	v_cmp_nlt_f32_e64 s0, v8, v6
	s_mov_b32 s2, -1
	s_and_b32 s4, vcc_lo, s0
	s_and_saveexec_b32 s0, s4
	s_cbranch_execz .LBB24_191
; %bb.188:
	s_mov_b32 s2, 0
	s_mov_b32 s4, exec_lo
	v_cmpx_eq_f32_e32 v8, v6
; %bb.189:
	v_cmp_lt_f32_e32 vcc_lo, v9, v7
	s_and_b32 s2, vcc_lo, exec_lo
; %bb.190:
	s_or_b32 exec_lo, exec_lo, s4
	s_delay_alu instid0(SALU_CYCLE_1)
	s_or_not1_b32 s2, s2, exec_lo
.LBB24_191:
	s_or_b32 exec_lo, exec_lo, s0
	s_delay_alu instid0(SALU_CYCLE_1)
	s_and_b32 s2, s2, exec_lo
.LBB24_192:
	s_or_b32 exec_lo, exec_lo, s3
	s_xor_b32 s0, s2, -1
                                        ; implicit-def: $vgpr10_vgpr11
	s_delay_alu instid0(SALU_CYCLE_1) | instskip(NEXT) | instid1(SALU_CYCLE_1)
	s_and_saveexec_b32 s3, s0
	s_xor_b32 s0, exec_lo, s3
; %bb.193:
	v_lshl_add_u32 v10, v14, 3, v34
	ds_load_b64 v[10:11], v10 offset:8
; %bb.194:
	s_or_saveexec_b32 s0, s0
	s_wait_dscnt 0x0
	v_mov_b64_e32 v[12:13], v[8:9]
	s_xor_b32 exec_lo, exec_lo, s0
; %bb.195:
	v_lshl_add_u32 v10, v15, 3, v34
	ds_load_b64 v[12:13], v10 offset:8
	v_mov_b64_e32 v[10:11], v[6:7]
; %bb.196:
	s_or_b32 exec_lo, exec_lo, s0
	v_add_nc_u32_e32 v16, 1, v15
	s_mov_b32 s0, exec_lo
	s_delay_alu instid0(VALU_DEP_1) | instskip(NEXT) | instid1(VALU_DEP_1)
	v_dual_cndmask_b32 v18, v15, v16, s2 :: v_dual_add_nc_u32 v15, 1, v14
	v_cmpx_ge_i32_e64 v18, v38
	s_xor_b32 s0, exec_lo, s0
	s_delay_alu instid0(SALU_CYCLE_1) | instskip(NEXT) | instid1(VALU_DEP_2)
	s_or_saveexec_b32 s4, s0
	v_cndmask_b32_e64 v19, v15, v14, s2
	s_mov_b32 s3, 0
	s_xor_b32 exec_lo, exec_lo, s4
	s_cbranch_execz .LBB24_202
; %bb.197:
	s_delay_alu instid0(VALU_DEP_1) | instskip(SKIP_4) | instid1(SALU_CYCLE_1)
	v_cmp_lt_i32_e32 vcc_lo, v19, v37
	s_wait_dscnt 0x0
	v_cmp_nlt_f32_e64 s0, v12, v10
	s_mov_b32 s3, -1
	s_and_b32 s5, vcc_lo, s0
	s_and_saveexec_b32 s0, s5
	s_cbranch_execz .LBB24_201
; %bb.198:
	s_mov_b32 s3, 0
	s_mov_b32 s5, exec_lo
	v_cmpx_eq_f32_e32 v12, v10
; %bb.199:
	v_cmp_lt_f32_e32 vcc_lo, v13, v11
	s_and_b32 s3, vcc_lo, exec_lo
; %bb.200:
	s_or_b32 exec_lo, exec_lo, s5
	s_delay_alu instid0(SALU_CYCLE_1)
	s_or_not1_b32 s3, s3, exec_lo
.LBB24_201:
	s_or_b32 exec_lo, exec_lo, s0
	s_delay_alu instid0(SALU_CYCLE_1)
	s_and_b32 s3, s3, exec_lo
.LBB24_202:
	s_or_b32 exec_lo, exec_lo, s4
	s_xor_b32 s0, s3, -1
                                        ; implicit-def: $vgpr14_vgpr15
	s_delay_alu instid0(SALU_CYCLE_1) | instskip(NEXT) | instid1(SALU_CYCLE_1)
	s_and_saveexec_b32 s4, s0
	s_xor_b32 s0, exec_lo, s4
; %bb.203:
	v_lshl_add_u32 v14, v19, 3, v34
	ds_load_b64 v[14:15], v14 offset:8
; %bb.204:
	s_or_saveexec_b32 s0, s0
	s_wait_dscnt 0x0
	v_mov_b64_e32 v[16:17], v[12:13]
	s_xor_b32 exec_lo, exec_lo, s0
; %bb.205:
	v_lshl_add_u32 v14, v18, 3, v34
	ds_load_b64 v[16:17], v14 offset:8
	v_mov_b64_e32 v[14:15], v[10:11]
; %bb.206:
	s_or_b32 exec_lo, exec_lo, s0
	v_dual_add_nc_u32 v20, 1, v18 :: v_dual_add_nc_u32 v21, 1, v19
	s_mov_b32 s4, 0
	s_mov_b32 s5, exec_lo
	s_delay_alu instid0(VALU_DEP_1) | instskip(NEXT) | instid1(VALU_DEP_1)
	v_dual_cndmask_b32 v23, v18, v20, s3 :: v_dual_cndmask_b32 v22, v21, v19, s3
	v_cmpx_lt_i32_e64 v23, v38
	s_cbranch_execz .LBB24_212
; %bb.207:
	s_delay_alu instid0(VALU_DEP_2) | instskip(SKIP_4) | instid1(SALU_CYCLE_1)
	v_cmp_lt_i32_e32 vcc_lo, v22, v37
	s_wait_dscnt 0x0
	v_cmp_nlt_f32_e64 s0, v16, v14
	s_mov_b32 s4, -1
	s_and_b32 s6, vcc_lo, s0
	s_and_saveexec_b32 s0, s6
	s_cbranch_execz .LBB24_211
; %bb.208:
	s_mov_b32 s4, 0
	s_mov_b32 s6, exec_lo
	v_cmpx_eq_f32_e32 v16, v14
; %bb.209:
	v_cmp_lt_f32_e32 vcc_lo, v17, v15
	s_and_b32 s4, vcc_lo, exec_lo
; %bb.210:
	s_or_b32 exec_lo, exec_lo, s6
	s_delay_alu instid0(SALU_CYCLE_1)
	s_or_not1_b32 s4, s4, exec_lo
.LBB24_211:
	s_or_b32 exec_lo, exec_lo, s0
	s_delay_alu instid0(SALU_CYCLE_1)
	s_and_b32 s4, s4, exec_lo
.LBB24_212:
	s_or_b32 exec_lo, exec_lo, s5
	s_xor_b32 s0, s4, -1
                                        ; implicit-def: $vgpr18_vgpr19
	s_delay_alu instid0(SALU_CYCLE_1) | instskip(NEXT) | instid1(SALU_CYCLE_1)
	s_and_saveexec_b32 s5, s0
	s_xor_b32 s0, exec_lo, s5
; %bb.213:
	v_lshl_add_u32 v18, v22, 3, v34
	ds_load_b64 v[18:19], v18 offset:8
; %bb.214:
	s_or_saveexec_b32 s0, s0
	s_wait_dscnt 0x0
	v_mov_b64_e32 v[20:21], v[16:17]
	s_xor_b32 exec_lo, exec_lo, s0
; %bb.215:
	v_lshl_add_u32 v18, v23, 3, v34
	ds_load_b64 v[20:21], v18 offset:8
	v_mov_b64_e32 v[18:19], v[14:15]
; %bb.216:
	s_or_b32 exec_lo, exec_lo, s0
	v_add_nc_u32_e32 v24, 1, v23
	s_mov_b32 s0, exec_lo
	s_delay_alu instid0(VALU_DEP_1) | instskip(NEXT) | instid1(VALU_DEP_1)
	v_dual_cndmask_b32 v26, v23, v24, s4 :: v_dual_add_nc_u32 v23, 1, v22
	v_cmpx_ge_i32_e64 v26, v38
	s_xor_b32 s0, exec_lo, s0
	s_delay_alu instid0(SALU_CYCLE_1) | instskip(NEXT) | instid1(VALU_DEP_2)
	s_or_saveexec_b32 s6, s0
	v_cndmask_b32_e64 v27, v23, v22, s4
	s_mov_b32 s5, 0
	s_xor_b32 exec_lo, exec_lo, s6
	s_cbranch_execz .LBB24_222
; %bb.217:
	s_delay_alu instid0(VALU_DEP_1) | instskip(SKIP_4) | instid1(SALU_CYCLE_1)
	v_cmp_lt_i32_e32 vcc_lo, v27, v37
	s_wait_dscnt 0x0
	v_cmp_nlt_f32_e64 s0, v20, v18
	s_mov_b32 s5, -1
	s_and_b32 s7, vcc_lo, s0
	s_and_saveexec_b32 s0, s7
	s_cbranch_execz .LBB24_221
; %bb.218:
	s_mov_b32 s5, 0
	s_mov_b32 s7, exec_lo
	v_cmpx_eq_f32_e32 v20, v18
; %bb.219:
	v_cmp_lt_f32_e32 vcc_lo, v21, v19
	s_and_b32 s5, vcc_lo, exec_lo
; %bb.220:
	s_or_b32 exec_lo, exec_lo, s7
	s_delay_alu instid0(SALU_CYCLE_1)
	s_or_not1_b32 s5, s5, exec_lo
.LBB24_221:
	s_or_b32 exec_lo, exec_lo, s0
	s_delay_alu instid0(SALU_CYCLE_1)
	s_and_b32 s5, s5, exec_lo
.LBB24_222:
	s_or_b32 exec_lo, exec_lo, s6
	s_xor_b32 s0, s5, -1
                                        ; implicit-def: $vgpr22_vgpr23
	s_delay_alu instid0(SALU_CYCLE_1) | instskip(NEXT) | instid1(SALU_CYCLE_1)
	s_and_saveexec_b32 s6, s0
	s_xor_b32 s0, exec_lo, s6
; %bb.223:
	v_lshl_add_u32 v22, v27, 3, v34
	ds_load_b64 v[22:23], v22 offset:8
; %bb.224:
	s_or_saveexec_b32 s0, s0
	s_wait_dscnt 0x0
	v_mov_b64_e32 v[24:25], v[20:21]
	s_xor_b32 exec_lo, exec_lo, s0
; %bb.225:
	v_lshl_add_u32 v22, v26, 3, v34
	ds_load_b64 v[24:25], v22 offset:8
	v_mov_b64_e32 v[22:23], v[18:19]
; %bb.226:
	s_or_b32 exec_lo, exec_lo, s0
	v_dual_add_nc_u32 v28, 1, v26 :: v_dual_add_nc_u32 v29, 1, v27
	s_mov_b32 s6, 0
	s_mov_b32 s7, exec_lo
	s_delay_alu instid0(VALU_DEP_1) | instskip(NEXT) | instid1(VALU_DEP_1)
	v_dual_cndmask_b32 v31, v26, v28, s5 :: v_dual_cndmask_b32 v30, v29, v27, s5
	v_cmpx_lt_i32_e64 v31, v38
	s_cbranch_execz .LBB24_232
; %bb.227:
	s_delay_alu instid0(VALU_DEP_2) | instskip(SKIP_4) | instid1(SALU_CYCLE_1)
	v_cmp_lt_i32_e32 vcc_lo, v30, v37
	s_wait_dscnt 0x0
	v_cmp_nlt_f32_e64 s0, v24, v22
	s_mov_b32 s6, -1
	s_and_b32 s8, vcc_lo, s0
	s_and_saveexec_b32 s0, s8
	s_cbranch_execz .LBB24_231
; %bb.228:
	s_mov_b32 s6, 0
	s_mov_b32 s8, exec_lo
	v_cmpx_eq_f32_e32 v24, v22
; %bb.229:
	v_cmp_lt_f32_e32 vcc_lo, v25, v23
	s_and_b32 s6, vcc_lo, exec_lo
; %bb.230:
	s_or_b32 exec_lo, exec_lo, s8
	s_delay_alu instid0(SALU_CYCLE_1)
	s_or_not1_b32 s6, s6, exec_lo
.LBB24_231:
	s_or_b32 exec_lo, exec_lo, s0
	s_delay_alu instid0(SALU_CYCLE_1)
	s_and_b32 s6, s6, exec_lo
.LBB24_232:
	s_or_b32 exec_lo, exec_lo, s7
	s_xor_b32 s0, s6, -1
                                        ; implicit-def: $vgpr26_vgpr27
	s_delay_alu instid0(SALU_CYCLE_1) | instskip(NEXT) | instid1(SALU_CYCLE_1)
	s_and_saveexec_b32 s7, s0
	s_xor_b32 s0, exec_lo, s7
; %bb.233:
	v_lshl_add_u32 v26, v30, 3, v34
	ds_load_b64 v[26:27], v26 offset:8
; %bb.234:
	s_or_saveexec_b32 s0, s0
	s_wait_dscnt 0x0
	v_mov_b64_e32 v[28:29], v[24:25]
	s_xor_b32 exec_lo, exec_lo, s0
; %bb.235:
	v_lshl_add_u32 v26, v31, 3, v34
	ds_load_b64 v[28:29], v26 offset:8
	v_mov_b64_e32 v[26:27], v[22:23]
; %bb.236:
	s_or_b32 exec_lo, exec_lo, s0
	v_add_nc_u32_e32 v32, 1, v31
	s_mov_b32 s0, exec_lo
	s_delay_alu instid0(VALU_DEP_1) | instskip(NEXT) | instid1(VALU_DEP_1)
	v_dual_cndmask_b32 v39, v31, v32, s6 :: v_dual_add_nc_u32 v31, 1, v30
	v_cmpx_ge_i32_e64 v39, v38
	s_xor_b32 s0, exec_lo, s0
	s_delay_alu instid0(SALU_CYCLE_1) | instskip(NEXT) | instid1(VALU_DEP_2)
	s_or_saveexec_b32 s8, s0
	v_cndmask_b32_e64 v40, v31, v30, s6
	s_mov_b32 s7, 0
	s_xor_b32 exec_lo, exec_lo, s8
	s_cbranch_execz .LBB24_242
; %bb.237:
	s_delay_alu instid0(VALU_DEP_1) | instskip(SKIP_4) | instid1(SALU_CYCLE_1)
	v_cmp_lt_i32_e32 vcc_lo, v40, v37
	s_wait_dscnt 0x0
	v_cmp_nlt_f32_e64 s0, v28, v26
	s_mov_b32 s7, -1
	s_and_b32 s9, vcc_lo, s0
	s_and_saveexec_b32 s0, s9
	s_cbranch_execz .LBB24_241
; %bb.238:
	s_mov_b32 s7, 0
	s_mov_b32 s9, exec_lo
	v_cmpx_eq_f32_e32 v28, v26
; %bb.239:
	v_cmp_lt_f32_e32 vcc_lo, v29, v27
	s_and_b32 s7, vcc_lo, exec_lo
; %bb.240:
	s_or_b32 exec_lo, exec_lo, s9
	s_delay_alu instid0(SALU_CYCLE_1)
	s_or_not1_b32 s7, s7, exec_lo
.LBB24_241:
	s_or_b32 exec_lo, exec_lo, s0
	s_delay_alu instid0(SALU_CYCLE_1)
	s_and_b32 s7, s7, exec_lo
.LBB24_242:
	s_or_b32 exec_lo, exec_lo, s8
	s_xor_b32 s0, s7, -1
                                        ; implicit-def: $vgpr30_vgpr31
	s_delay_alu instid0(SALU_CYCLE_1) | instskip(NEXT) | instid1(SALU_CYCLE_1)
	s_and_saveexec_b32 s8, s0
	s_xor_b32 s0, exec_lo, s8
; %bb.243:
	v_lshl_add_u32 v30, v40, 3, v34
	ds_load_b64 v[30:31], v30 offset:8
; %bb.244:
	s_or_saveexec_b32 s0, s0
	s_wait_dscnt 0x0
	v_mov_b64_e32 v[32:33], v[28:29]
	s_xor_b32 exec_lo, exec_lo, s0
; %bb.245:
	v_lshl_add_u32 v30, v39, 3, v34
	ds_load_b64 v[32:33], v30 offset:8
	v_mov_b64_e32 v[30:31], v[26:27]
; %bb.246:
	s_or_b32 exec_lo, exec_lo, s0
	v_add_nc_u32_e32 v41, 1, v39
	s_mov_b32 s0, 0
	s_mov_b32 s8, exec_lo
	s_delay_alu instid0(VALU_DEP_1) | instskip(NEXT) | instid1(VALU_DEP_1)
	v_cndmask_b32_e64 v39, v39, v41, s7
	v_cmpx_lt_i32_e64 v39, v38
	s_cbranch_execz .LBB24_252
; %bb.247:
	v_add_nc_u32_e32 v38, 1, v40
	s_wait_dscnt 0x0
	v_cmp_nlt_f32_e32 vcc_lo, v32, v30
	s_mov_b32 s9, -1
	s_delay_alu instid0(VALU_DEP_2) | instskip(NEXT) | instid1(VALU_DEP_1)
	v_cndmask_b32_e64 v38, v38, v40, s7
	v_cmp_lt_i32_e64 s0, v38, v37
	s_and_b32 s10, s0, vcc_lo
	s_delay_alu instid0(SALU_CYCLE_1)
	s_and_saveexec_b32 s0, s10
	s_cbranch_execz .LBB24_251
; %bb.248:
	s_mov_b32 s9, 0
	s_mov_b32 s10, exec_lo
	v_cmpx_eq_f32_e32 v32, v30
; %bb.249:
	v_cmp_lt_f32_e32 vcc_lo, v33, v31
	s_and_b32 s9, vcc_lo, exec_lo
; %bb.250:
	s_or_b32 exec_lo, exec_lo, s10
	s_delay_alu instid0(SALU_CYCLE_1)
	s_or_not1_b32 s9, s9, exec_lo
.LBB24_251:
	s_or_b32 exec_lo, exec_lo, s0
	s_delay_alu instid0(SALU_CYCLE_1)
	s_and_b32 s0, s9, exec_lo
.LBB24_252:
	s_or_b32 exec_lo, exec_lo, s8
	v_dual_cndmask_b32 v17, v15, v17, s4 :: v_dual_cndmask_b32 v16, v14, v16, s4
	v_and_b32_e32 v15, 0x80, v35
	v_dual_cndmask_b32 v9, v7, v9, s2 :: v_dual_cndmask_b32 v8, v6, v8, s2
	v_cndmask_b32_e64 v5, v3, v5, s1
	v_and_b32_e32 v6, 0x78, v35
	s_delay_alu instid0(VALU_DEP_4) | instskip(SKIP_2) | instid1(VALU_DEP_3)
	v_dual_cndmask_b32 v4, v2, v4, s1 :: v_dual_bitop2_b32 v37, 64, v15 bitop3:0x54
	v_dual_cndmask_b32 v23, v23, v25, s6 :: v_dual_cndmask_b32 v22, v22, v24, s6
	v_dual_cndmask_b32 v18, v18, v20, s5 :: v_dual_cndmask_b32 v19, v19, v21, s5
	v_dual_sub_nc_u32 v2, v37, v15 :: v_dual_cndmask_b32 v12, v10, v12, s3
	v_cndmask_b32_e64 v13, v11, v13, s3
	v_sub_nc_u32_e64 v10, v6, 64 clamp
	v_dual_cndmask_b32 v26, v26, v28, s7 :: v_dual_cndmask_b32 v27, v27, v29, s7
	s_delay_alu instid0(VALU_DEP_4)
	v_min_i32_e32 v3, v6, v2
	v_lshl_add_u32 v2, v15, 3, v34
	s_wait_dscnt 0x0
	v_dual_cndmask_b32 v21, v31, v33, s0 :: v_dual_cndmask_b32 v20, v30, v32, s0
	s_mov_b32 s0, exec_lo
	; wave barrier
	ds_store_2addr_b64 v36, v[4:5], v[8:9] offset1:1
	ds_store_2addr_b64 v36, v[12:13], v[16:17] offset0:2 offset1:3
	ds_store_2addr_b64 v36, v[18:19], v[22:23] offset0:4 offset1:5
	;; [unrolled: 1-line block ×3, first 2 shown]
	; wave barrier
	v_cmpx_lt_i32_e64 v10, v3
	s_cbranch_execz .LBB24_260
; %bb.253:
	v_lshl_add_u32 v4, v6, 3, v2
	s_mov_b32 s1, 0
                                        ; implicit-def: $sgpr2
	s_branch .LBB24_256
.LBB24_254:                             ;   in Loop: Header=BB24_256 Depth=1
	s_or_b32 exec_lo, exec_lo, s5
	s_delay_alu instid0(SALU_CYCLE_1) | instskip(SKIP_1) | instid1(SALU_CYCLE_1)
	s_and_not1_b32 s2, s2, exec_lo
	s_and_b32 s4, s4, exec_lo
	s_or_b32 s2, s2, s4
.LBB24_255:                             ;   in Loop: Header=BB24_256 Depth=1
	s_or_b32 exec_lo, exec_lo, s3
	v_dual_add_nc_u32 v7, 1, v5 :: v_dual_cndmask_b32 v3, v3, v5, s2
	s_delay_alu instid0(VALU_DEP_1) | instskip(NEXT) | instid1(VALU_DEP_1)
	v_cndmask_b32_e64 v10, v7, v10, s2
	v_cmp_ge_i32_e32 vcc_lo, v10, v3
	s_or_b32 s1, vcc_lo, s1
	s_delay_alu instid0(SALU_CYCLE_1)
	s_and_not1_b32 exec_lo, exec_lo, s1
	s_cbranch_execz .LBB24_259
.LBB24_256:                             ; =>This Inner Loop Header: Depth=1
	v_sub_nc_u32_e32 v5, v3, v10
	s_or_b32 s2, s2, exec_lo
	s_mov_b32 s3, exec_lo
	s_delay_alu instid0(VALU_DEP_1) | instskip(NEXT) | instid1(VALU_DEP_1)
	v_lshrrev_b32_e32 v5, 1, v5
	v_add_nc_u32_e32 v5, v5, v10
	s_delay_alu instid0(VALU_DEP_1) | instskip(SKIP_1) | instid1(VALU_DEP_2)
	v_not_b32_e32 v8, v5
	v_lshl_add_u32 v7, v5, 3, v2
	v_lshl_add_u32 v8, v8, 3, v4
	ds_load_b32 v9, v7
	ds_load_b32 v11, v8 offset:512
	s_wait_dscnt 0x0
	v_cmpx_nlt_f32_e32 v11, v9
	s_cbranch_execz .LBB24_255
; %bb.257:                              ;   in Loop: Header=BB24_256 Depth=1
	s_mov_b32 s4, 0
	s_mov_b32 s5, exec_lo
	v_cmpx_eq_f32_e32 v11, v9
	s_cbranch_execz .LBB24_254
; %bb.258:                              ;   in Loop: Header=BB24_256 Depth=1
	ds_load_b32 v8, v8 offset:516
	ds_load_b32 v7, v7 offset:4
	s_wait_dscnt 0x0
	v_cmp_lt_f32_e32 vcc_lo, v8, v7
	s_and_b32 s4, vcc_lo, exec_lo
	s_branch .LBB24_254
.LBB24_259:
	s_or_b32 exec_lo, exec_lo, s1
.LBB24_260:
	s_delay_alu instid0(SALU_CYCLE_1) | instskip(SKIP_4) | instid1(VALU_DEP_3)
	s_or_b32 exec_lo, exec_lo, s0
	v_dual_add_nc_u32 v3, v15, v6 :: v_dual_add_nc_u32 v6, v37, v6
	v_lshl_add_u32 v8, v10, 3, v2
	v_add_nc_u32_e32 v38, 0x80, v15
	s_mov_b32 s0, exec_lo
	v_dual_sub_nc_u32 v3, v3, v10 :: v_dual_sub_nc_u32 v11, v6, v10
	s_delay_alu instid0(VALU_DEP_1) | instskip(SKIP_4) | instid1(SALU_CYCLE_1)
	v_lshl_add_u32 v12, v3, 3, v34
	ds_load_b64 v[2:3], v8
	ds_load_b64 v[4:5], v12 offset:512
	v_cmpx_le_i32_e64 v38, v11
	s_xor_b32 s0, exec_lo, s0
	s_or_saveexec_b32 s2, s0
	s_mov_b32 s1, 0
	s_xor_b32 exec_lo, exec_lo, s2
	s_cbranch_execz .LBB24_266
; %bb.261:
	v_cmp_gt_i32_e32 vcc_lo, 64, v10
	s_wait_dscnt 0x0
	v_cmp_nlt_f32_e64 s0, v4, v2
	s_mov_b32 s1, -1
	s_and_b32 s3, vcc_lo, s0
	s_delay_alu instid0(SALU_CYCLE_1)
	s_and_saveexec_b32 s0, s3
	s_cbranch_execz .LBB24_265
; %bb.262:
	s_mov_b32 s1, 0
	s_mov_b32 s3, exec_lo
	v_cmpx_eq_f32_e32 v4, v2
; %bb.263:
	v_cmp_lt_f32_e32 vcc_lo, v5, v3
	s_and_b32 s1, vcc_lo, exec_lo
; %bb.264:
	s_or_b32 exec_lo, exec_lo, s3
	s_delay_alu instid0(SALU_CYCLE_1)
	s_or_not1_b32 s1, s1, exec_lo
.LBB24_265:
	s_or_b32 exec_lo, exec_lo, s0
	s_delay_alu instid0(SALU_CYCLE_1)
	s_and_b32 s1, s1, exec_lo
.LBB24_266:
	s_or_b32 exec_lo, exec_lo, s2
	s_xor_b32 s0, s1, -1
                                        ; implicit-def: $vgpr6_vgpr7
	s_delay_alu instid0(SALU_CYCLE_1) | instskip(NEXT) | instid1(SALU_CYCLE_1)
	s_and_saveexec_b32 s2, s0
	s_xor_b32 s0, exec_lo, s2
; %bb.267:
	ds_load_b64 v[6:7], v8 offset:8
                                        ; implicit-def: $vgpr12
; %bb.268:
	s_or_saveexec_b32 s0, s0
	s_wait_dscnt 0x0
	v_mov_b64_e32 v[8:9], v[4:5]
	s_xor_b32 exec_lo, exec_lo, s0
; %bb.269:
	ds_load_b64 v[8:9], v12 offset:520
	v_mov_b64_e32 v[6:7], v[2:3]
; %bb.270:
	s_or_b32 exec_lo, exec_lo, s0
	v_add_nc_u32_e32 v12, 1, v11
	v_add_nc_u32_e32 v10, v10, v15
	s_mov_b32 s2, 0
	s_mov_b32 s3, exec_lo
	s_delay_alu instid0(VALU_DEP_1) | instskip(NEXT) | instid1(VALU_DEP_1)
	v_dual_cndmask_b32 v15, v11, v12, s1 :: v_dual_add_nc_u32 v13, 1, v10
	v_cndmask_b32_e64 v14, v13, v10, s1
	s_delay_alu instid0(VALU_DEP_2)
	v_cmpx_lt_i32_e64 v15, v38
	s_cbranch_execz .LBB24_276
; %bb.271:
	s_delay_alu instid0(VALU_DEP_2) | instskip(SKIP_4) | instid1(SALU_CYCLE_1)
	v_cmp_lt_i32_e32 vcc_lo, v14, v37
	s_wait_dscnt 0x0
	v_cmp_nlt_f32_e64 s0, v8, v6
	s_mov_b32 s2, -1
	s_and_b32 s4, vcc_lo, s0
	s_and_saveexec_b32 s0, s4
	s_cbranch_execz .LBB24_275
; %bb.272:
	s_mov_b32 s2, 0
	s_mov_b32 s4, exec_lo
	v_cmpx_eq_f32_e32 v8, v6
; %bb.273:
	v_cmp_lt_f32_e32 vcc_lo, v9, v7
	s_and_b32 s2, vcc_lo, exec_lo
; %bb.274:
	s_or_b32 exec_lo, exec_lo, s4
	s_delay_alu instid0(SALU_CYCLE_1)
	s_or_not1_b32 s2, s2, exec_lo
.LBB24_275:
	s_or_b32 exec_lo, exec_lo, s0
	s_delay_alu instid0(SALU_CYCLE_1)
	s_and_b32 s2, s2, exec_lo
.LBB24_276:
	s_or_b32 exec_lo, exec_lo, s3
	s_xor_b32 s0, s2, -1
                                        ; implicit-def: $vgpr10_vgpr11
	s_delay_alu instid0(SALU_CYCLE_1) | instskip(NEXT) | instid1(SALU_CYCLE_1)
	s_and_saveexec_b32 s3, s0
	s_xor_b32 s0, exec_lo, s3
; %bb.277:
	v_lshl_add_u32 v10, v14, 3, v34
	ds_load_b64 v[10:11], v10 offset:8
; %bb.278:
	s_or_saveexec_b32 s0, s0
	s_wait_dscnt 0x0
	v_mov_b64_e32 v[12:13], v[8:9]
	s_xor_b32 exec_lo, exec_lo, s0
; %bb.279:
	v_lshl_add_u32 v10, v15, 3, v34
	ds_load_b64 v[12:13], v10 offset:8
	v_mov_b64_e32 v[10:11], v[6:7]
; %bb.280:
	s_or_b32 exec_lo, exec_lo, s0
	v_add_nc_u32_e32 v16, 1, v15
	s_mov_b32 s0, exec_lo
	s_delay_alu instid0(VALU_DEP_1) | instskip(NEXT) | instid1(VALU_DEP_1)
	v_dual_cndmask_b32 v18, v15, v16, s2 :: v_dual_add_nc_u32 v15, 1, v14
	v_cmpx_ge_i32_e64 v18, v38
	s_xor_b32 s0, exec_lo, s0
	s_delay_alu instid0(SALU_CYCLE_1) | instskip(NEXT) | instid1(VALU_DEP_2)
	s_or_saveexec_b32 s4, s0
	v_cndmask_b32_e64 v19, v15, v14, s2
	s_mov_b32 s3, 0
	s_xor_b32 exec_lo, exec_lo, s4
	s_cbranch_execz .LBB24_286
; %bb.281:
	s_delay_alu instid0(VALU_DEP_1) | instskip(SKIP_4) | instid1(SALU_CYCLE_1)
	v_cmp_lt_i32_e32 vcc_lo, v19, v37
	s_wait_dscnt 0x0
	v_cmp_nlt_f32_e64 s0, v12, v10
	s_mov_b32 s3, -1
	s_and_b32 s5, vcc_lo, s0
	s_and_saveexec_b32 s0, s5
	s_cbranch_execz .LBB24_285
; %bb.282:
	s_mov_b32 s3, 0
	s_mov_b32 s5, exec_lo
	v_cmpx_eq_f32_e32 v12, v10
; %bb.283:
	v_cmp_lt_f32_e32 vcc_lo, v13, v11
	s_and_b32 s3, vcc_lo, exec_lo
; %bb.284:
	s_or_b32 exec_lo, exec_lo, s5
	s_delay_alu instid0(SALU_CYCLE_1)
	s_or_not1_b32 s3, s3, exec_lo
.LBB24_285:
	s_or_b32 exec_lo, exec_lo, s0
	s_delay_alu instid0(SALU_CYCLE_1)
	s_and_b32 s3, s3, exec_lo
.LBB24_286:
	s_or_b32 exec_lo, exec_lo, s4
	s_xor_b32 s0, s3, -1
                                        ; implicit-def: $vgpr14_vgpr15
	s_delay_alu instid0(SALU_CYCLE_1) | instskip(NEXT) | instid1(SALU_CYCLE_1)
	s_and_saveexec_b32 s4, s0
	s_xor_b32 s0, exec_lo, s4
; %bb.287:
	v_lshl_add_u32 v14, v19, 3, v34
	ds_load_b64 v[14:15], v14 offset:8
; %bb.288:
	s_or_saveexec_b32 s0, s0
	s_wait_dscnt 0x0
	v_mov_b64_e32 v[16:17], v[12:13]
	s_xor_b32 exec_lo, exec_lo, s0
; %bb.289:
	v_lshl_add_u32 v14, v18, 3, v34
	ds_load_b64 v[16:17], v14 offset:8
	v_mov_b64_e32 v[14:15], v[10:11]
; %bb.290:
	s_or_b32 exec_lo, exec_lo, s0
	v_dual_add_nc_u32 v20, 1, v18 :: v_dual_add_nc_u32 v21, 1, v19
	s_mov_b32 s4, 0
	s_mov_b32 s5, exec_lo
	s_delay_alu instid0(VALU_DEP_1) | instskip(NEXT) | instid1(VALU_DEP_1)
	v_dual_cndmask_b32 v23, v18, v20, s3 :: v_dual_cndmask_b32 v22, v21, v19, s3
	v_cmpx_lt_i32_e64 v23, v38
	s_cbranch_execz .LBB24_296
; %bb.291:
	s_delay_alu instid0(VALU_DEP_2) | instskip(SKIP_4) | instid1(SALU_CYCLE_1)
	v_cmp_lt_i32_e32 vcc_lo, v22, v37
	s_wait_dscnt 0x0
	v_cmp_nlt_f32_e64 s0, v16, v14
	s_mov_b32 s4, -1
	s_and_b32 s6, vcc_lo, s0
	s_and_saveexec_b32 s0, s6
	s_cbranch_execz .LBB24_295
; %bb.292:
	s_mov_b32 s4, 0
	s_mov_b32 s6, exec_lo
	v_cmpx_eq_f32_e32 v16, v14
; %bb.293:
	v_cmp_lt_f32_e32 vcc_lo, v17, v15
	s_and_b32 s4, vcc_lo, exec_lo
; %bb.294:
	s_or_b32 exec_lo, exec_lo, s6
	s_delay_alu instid0(SALU_CYCLE_1)
	s_or_not1_b32 s4, s4, exec_lo
.LBB24_295:
	s_or_b32 exec_lo, exec_lo, s0
	s_delay_alu instid0(SALU_CYCLE_1)
	s_and_b32 s4, s4, exec_lo
.LBB24_296:
	s_or_b32 exec_lo, exec_lo, s5
	s_xor_b32 s0, s4, -1
                                        ; implicit-def: $vgpr18_vgpr19
	s_delay_alu instid0(SALU_CYCLE_1) | instskip(NEXT) | instid1(SALU_CYCLE_1)
	s_and_saveexec_b32 s5, s0
	s_xor_b32 s0, exec_lo, s5
; %bb.297:
	v_lshl_add_u32 v18, v22, 3, v34
	ds_load_b64 v[18:19], v18 offset:8
; %bb.298:
	s_or_saveexec_b32 s0, s0
	s_wait_dscnt 0x0
	v_mov_b64_e32 v[20:21], v[16:17]
	s_xor_b32 exec_lo, exec_lo, s0
; %bb.299:
	v_lshl_add_u32 v18, v23, 3, v34
	ds_load_b64 v[20:21], v18 offset:8
	v_mov_b64_e32 v[18:19], v[14:15]
; %bb.300:
	s_or_b32 exec_lo, exec_lo, s0
	v_add_nc_u32_e32 v24, 1, v23
	s_mov_b32 s0, exec_lo
	s_delay_alu instid0(VALU_DEP_1) | instskip(NEXT) | instid1(VALU_DEP_1)
	v_dual_cndmask_b32 v26, v23, v24, s4 :: v_dual_add_nc_u32 v23, 1, v22
	v_cmpx_ge_i32_e64 v26, v38
	s_xor_b32 s0, exec_lo, s0
	s_delay_alu instid0(SALU_CYCLE_1) | instskip(NEXT) | instid1(VALU_DEP_2)
	s_or_saveexec_b32 s6, s0
	v_cndmask_b32_e64 v27, v23, v22, s4
	s_mov_b32 s5, 0
	s_xor_b32 exec_lo, exec_lo, s6
	s_cbranch_execz .LBB24_306
; %bb.301:
	s_delay_alu instid0(VALU_DEP_1) | instskip(SKIP_4) | instid1(SALU_CYCLE_1)
	v_cmp_lt_i32_e32 vcc_lo, v27, v37
	s_wait_dscnt 0x0
	v_cmp_nlt_f32_e64 s0, v20, v18
	s_mov_b32 s5, -1
	s_and_b32 s7, vcc_lo, s0
	s_and_saveexec_b32 s0, s7
	s_cbranch_execz .LBB24_305
; %bb.302:
	s_mov_b32 s5, 0
	s_mov_b32 s7, exec_lo
	v_cmpx_eq_f32_e32 v20, v18
; %bb.303:
	v_cmp_lt_f32_e32 vcc_lo, v21, v19
	s_and_b32 s5, vcc_lo, exec_lo
; %bb.304:
	s_or_b32 exec_lo, exec_lo, s7
	s_delay_alu instid0(SALU_CYCLE_1)
	s_or_not1_b32 s5, s5, exec_lo
.LBB24_305:
	s_or_b32 exec_lo, exec_lo, s0
	s_delay_alu instid0(SALU_CYCLE_1)
	s_and_b32 s5, s5, exec_lo
.LBB24_306:
	s_or_b32 exec_lo, exec_lo, s6
	s_xor_b32 s0, s5, -1
                                        ; implicit-def: $vgpr22_vgpr23
	s_delay_alu instid0(SALU_CYCLE_1) | instskip(NEXT) | instid1(SALU_CYCLE_1)
	s_and_saveexec_b32 s6, s0
	s_xor_b32 s0, exec_lo, s6
; %bb.307:
	v_lshl_add_u32 v22, v27, 3, v34
	ds_load_b64 v[22:23], v22 offset:8
; %bb.308:
	s_or_saveexec_b32 s0, s0
	s_wait_dscnt 0x0
	v_mov_b64_e32 v[24:25], v[20:21]
	s_xor_b32 exec_lo, exec_lo, s0
; %bb.309:
	v_lshl_add_u32 v22, v26, 3, v34
	ds_load_b64 v[24:25], v22 offset:8
	v_mov_b64_e32 v[22:23], v[18:19]
; %bb.310:
	s_or_b32 exec_lo, exec_lo, s0
	v_dual_add_nc_u32 v28, 1, v26 :: v_dual_add_nc_u32 v29, 1, v27
	s_mov_b32 s6, 0
	s_mov_b32 s7, exec_lo
	s_delay_alu instid0(VALU_DEP_1) | instskip(NEXT) | instid1(VALU_DEP_1)
	v_dual_cndmask_b32 v31, v26, v28, s5 :: v_dual_cndmask_b32 v30, v29, v27, s5
	v_cmpx_lt_i32_e64 v31, v38
	s_cbranch_execz .LBB24_316
; %bb.311:
	s_delay_alu instid0(VALU_DEP_2) | instskip(SKIP_4) | instid1(SALU_CYCLE_1)
	v_cmp_lt_i32_e32 vcc_lo, v30, v37
	s_wait_dscnt 0x0
	v_cmp_nlt_f32_e64 s0, v24, v22
	s_mov_b32 s6, -1
	s_and_b32 s8, vcc_lo, s0
	s_and_saveexec_b32 s0, s8
	s_cbranch_execz .LBB24_315
; %bb.312:
	s_mov_b32 s6, 0
	s_mov_b32 s8, exec_lo
	v_cmpx_eq_f32_e32 v24, v22
; %bb.313:
	v_cmp_lt_f32_e32 vcc_lo, v25, v23
	s_and_b32 s6, vcc_lo, exec_lo
; %bb.314:
	s_or_b32 exec_lo, exec_lo, s8
	s_delay_alu instid0(SALU_CYCLE_1)
	s_or_not1_b32 s6, s6, exec_lo
.LBB24_315:
	s_or_b32 exec_lo, exec_lo, s0
	s_delay_alu instid0(SALU_CYCLE_1)
	s_and_b32 s6, s6, exec_lo
.LBB24_316:
	s_or_b32 exec_lo, exec_lo, s7
	s_xor_b32 s0, s6, -1
                                        ; implicit-def: $vgpr26_vgpr27
	s_delay_alu instid0(SALU_CYCLE_1) | instskip(NEXT) | instid1(SALU_CYCLE_1)
	s_and_saveexec_b32 s7, s0
	s_xor_b32 s0, exec_lo, s7
; %bb.317:
	v_lshl_add_u32 v26, v30, 3, v34
	ds_load_b64 v[26:27], v26 offset:8
; %bb.318:
	s_or_saveexec_b32 s0, s0
	s_wait_dscnt 0x0
	v_mov_b64_e32 v[28:29], v[24:25]
	s_xor_b32 exec_lo, exec_lo, s0
; %bb.319:
	v_lshl_add_u32 v26, v31, 3, v34
	ds_load_b64 v[28:29], v26 offset:8
	v_mov_b64_e32 v[26:27], v[22:23]
; %bb.320:
	s_or_b32 exec_lo, exec_lo, s0
	v_add_nc_u32_e32 v32, 1, v31
	s_mov_b32 s0, exec_lo
	s_delay_alu instid0(VALU_DEP_1) | instskip(NEXT) | instid1(VALU_DEP_1)
	v_dual_cndmask_b32 v39, v31, v32, s6 :: v_dual_add_nc_u32 v31, 1, v30
	v_cmpx_ge_i32_e64 v39, v38
	s_xor_b32 s0, exec_lo, s0
	s_delay_alu instid0(SALU_CYCLE_1) | instskip(NEXT) | instid1(VALU_DEP_2)
	s_or_saveexec_b32 s8, s0
	v_cndmask_b32_e64 v40, v31, v30, s6
	s_mov_b32 s7, 0
	s_xor_b32 exec_lo, exec_lo, s8
	s_cbranch_execz .LBB24_326
; %bb.321:
	s_delay_alu instid0(VALU_DEP_1) | instskip(SKIP_4) | instid1(SALU_CYCLE_1)
	v_cmp_lt_i32_e32 vcc_lo, v40, v37
	s_wait_dscnt 0x0
	v_cmp_nlt_f32_e64 s0, v28, v26
	s_mov_b32 s7, -1
	s_and_b32 s9, vcc_lo, s0
	s_and_saveexec_b32 s0, s9
	s_cbranch_execz .LBB24_325
; %bb.322:
	s_mov_b32 s7, 0
	s_mov_b32 s9, exec_lo
	v_cmpx_eq_f32_e32 v28, v26
; %bb.323:
	v_cmp_lt_f32_e32 vcc_lo, v29, v27
	s_and_b32 s7, vcc_lo, exec_lo
; %bb.324:
	s_or_b32 exec_lo, exec_lo, s9
	s_delay_alu instid0(SALU_CYCLE_1)
	s_or_not1_b32 s7, s7, exec_lo
.LBB24_325:
	s_or_b32 exec_lo, exec_lo, s0
	s_delay_alu instid0(SALU_CYCLE_1)
	s_and_b32 s7, s7, exec_lo
.LBB24_326:
	s_or_b32 exec_lo, exec_lo, s8
	s_xor_b32 s0, s7, -1
                                        ; implicit-def: $vgpr30_vgpr31
	s_delay_alu instid0(SALU_CYCLE_1) | instskip(NEXT) | instid1(SALU_CYCLE_1)
	s_and_saveexec_b32 s8, s0
	s_xor_b32 s0, exec_lo, s8
; %bb.327:
	v_lshl_add_u32 v30, v40, 3, v34
	ds_load_b64 v[30:31], v30 offset:8
; %bb.328:
	s_or_saveexec_b32 s0, s0
	s_wait_dscnt 0x0
	v_mov_b64_e32 v[32:33], v[28:29]
	s_xor_b32 exec_lo, exec_lo, s0
; %bb.329:
	v_lshl_add_u32 v30, v39, 3, v34
	ds_load_b64 v[32:33], v30 offset:8
	v_mov_b64_e32 v[30:31], v[26:27]
; %bb.330:
	s_or_b32 exec_lo, exec_lo, s0
	v_add_nc_u32_e32 v41, 1, v39
	s_mov_b32 s0, 0
	s_mov_b32 s8, exec_lo
	s_delay_alu instid0(VALU_DEP_1) | instskip(NEXT) | instid1(VALU_DEP_1)
	v_cndmask_b32_e64 v39, v39, v41, s7
	v_cmpx_lt_i32_e64 v39, v38
	s_cbranch_execz .LBB24_336
; %bb.331:
	v_add_nc_u32_e32 v38, 1, v40
	s_wait_dscnt 0x0
	v_cmp_nlt_f32_e32 vcc_lo, v32, v30
	s_mov_b32 s9, -1
	s_delay_alu instid0(VALU_DEP_2) | instskip(NEXT) | instid1(VALU_DEP_1)
	v_cndmask_b32_e64 v38, v38, v40, s7
	v_cmp_lt_i32_e64 s0, v38, v37
	s_and_b32 s10, s0, vcc_lo
	s_delay_alu instid0(SALU_CYCLE_1)
	s_and_saveexec_b32 s0, s10
	s_cbranch_execz .LBB24_335
; %bb.332:
	s_mov_b32 s9, 0
	s_mov_b32 s10, exec_lo
	v_cmpx_eq_f32_e32 v32, v30
; %bb.333:
	v_cmp_lt_f32_e32 vcc_lo, v33, v31
	s_and_b32 s9, vcc_lo, exec_lo
; %bb.334:
	s_or_b32 exec_lo, exec_lo, s10
	s_delay_alu instid0(SALU_CYCLE_1)
	s_or_not1_b32 s9, s9, exec_lo
.LBB24_335:
	s_or_b32 exec_lo, exec_lo, s0
	s_delay_alu instid0(SALU_CYCLE_1)
	s_and_b32 s0, s9, exec_lo
.LBB24_336:
	s_or_b32 exec_lo, exec_lo, s8
	v_dual_cndmask_b32 v12, v10, v12, s3 :: v_dual_cndmask_b32 v13, v11, v13, s3
	v_dual_cndmask_b32 v7, v7, v9, s2 :: v_dual_cndmask_b32 v6, v6, v8, s2
	;; [unrolled: 1-line block ×3, first 2 shown]
	v_subrev_nc_u32_e64 v10, 0x80, v35 clamp
	v_min_i32_e32 v2, 0x80, v35
	v_dual_cndmask_b32 v15, v15, v17, s4 :: v_dual_cndmask_b32 v14, v14, v16, s4
	v_dual_cndmask_b32 v23, v23, v25, s6 :: v_dual_cndmask_b32 v22, v22, v24, s6
	v_dual_cndmask_b32 v18, v18, v20, s5 :: v_dual_cndmask_b32 v19, v19, v21, s5
	v_dual_cndmask_b32 v26, v26, v28, s7 :: v_dual_cndmask_b32 v27, v27, v29, s7
	s_wait_dscnt 0x0
	v_dual_cndmask_b32 v9, v31, v33, s0 :: v_dual_cndmask_b32 v8, v30, v32, s0
	s_mov_b32 s0, exec_lo
	; wave barrier
	ds_store_2addr_b64 v36, v[4:5], v[6:7] offset1:1
	ds_store_2addr_b64 v36, v[12:13], v[14:15] offset0:2 offset1:3
	ds_store_2addr_b64 v36, v[18:19], v[22:23] offset0:4 offset1:5
	;; [unrolled: 1-line block ×3, first 2 shown]
	; wave barrier
	v_cmpx_lt_u32_e64 v10, v2
	s_cbranch_execz .LBB24_344
; %bb.337:
	s_mov_b32 s1, 0
                                        ; implicit-def: $sgpr2
	s_branch .LBB24_340
.LBB24_338:                             ;   in Loop: Header=BB24_340 Depth=1
	s_or_b32 exec_lo, exec_lo, s5
	s_delay_alu instid0(SALU_CYCLE_1) | instskip(SKIP_1) | instid1(SALU_CYCLE_1)
	s_and_not1_b32 s2, s2, exec_lo
	s_and_b32 s4, s4, exec_lo
	s_or_b32 s2, s2, s4
.LBB24_339:                             ;   in Loop: Header=BB24_340 Depth=1
	s_or_b32 exec_lo, exec_lo, s3
	v_dual_add_nc_u32 v4, 1, v3 :: v_dual_cndmask_b32 v2, v2, v3, s2
	s_delay_alu instid0(VALU_DEP_1) | instskip(NEXT) | instid1(VALU_DEP_1)
	v_cndmask_b32_e64 v10, v4, v10, s2
	v_cmp_ge_i32_e32 vcc_lo, v10, v2
	s_or_b32 s1, vcc_lo, s1
	s_delay_alu instid0(SALU_CYCLE_1)
	s_and_not1_b32 exec_lo, exec_lo, s1
	s_cbranch_execz .LBB24_343
.LBB24_340:                             ; =>This Inner Loop Header: Depth=1
	v_sub_nc_u32_e32 v3, v2, v10
	s_or_b32 s2, s2, exec_lo
	s_mov_b32 s3, exec_lo
	s_delay_alu instid0(VALU_DEP_1) | instskip(NEXT) | instid1(VALU_DEP_1)
	v_lshrrev_b32_e32 v3, 1, v3
	v_add_nc_u32_e32 v3, v3, v10
	s_delay_alu instid0(VALU_DEP_1) | instskip(SKIP_1) | instid1(VALU_DEP_2)
	v_not_b32_e32 v5, v3
	v_lshl_add_u32 v4, v3, 3, v34
	v_lshl_add_u32 v5, v5, 3, v36
	ds_load_b32 v6, v4
	ds_load_b32 v7, v5 offset:1024
	s_wait_dscnt 0x0
	v_cmpx_nlt_f32_e32 v7, v6
	s_cbranch_execz .LBB24_339
; %bb.341:                              ;   in Loop: Header=BB24_340 Depth=1
	s_mov_b32 s4, 0
	s_mov_b32 s5, exec_lo
	v_cmpx_eq_f32_e32 v7, v6
	s_cbranch_execz .LBB24_338
; %bb.342:                              ;   in Loop: Header=BB24_340 Depth=1
	ds_load_b32 v5, v5 offset:1028
	ds_load_b32 v4, v4 offset:4
	s_wait_dscnt 0x0
	v_cmp_lt_f32_e32 vcc_lo, v5, v4
	s_and_b32 s4, vcc_lo, exec_lo
	s_branch .LBB24_338
.LBB24_343:
	s_or_b32 exec_lo, exec_lo, s1
.LBB24_344:
	s_delay_alu instid0(SALU_CYCLE_1) | instskip(SKIP_4) | instid1(VALU_DEP_2)
	s_or_b32 exec_lo, exec_lo, s0
	v_sub_nc_u32_e32 v6, v35, v10
	v_lshl_add_u32 v8, v10, 3, v34
	s_mov_b32 s1, 0
	s_mov_b32 s2, exec_lo
	v_lshl_add_u32 v12, v6, 3, v34
	v_add_nc_u32_e32 v11, 0x80, v6
	ds_load_b64 v[2:3], v8
	ds_load_b64 v[4:5], v12 offset:1024
	v_cmpx_gt_i32_e32 0x100, v11
	s_cbranch_execz .LBB24_350
; %bb.345:
	v_cmp_gt_i32_e32 vcc_lo, 0x80, v10
	s_wait_dscnt 0x0
	v_cmp_nlt_f32_e64 s0, v4, v2
	s_mov_b32 s1, -1
	s_and_b32 s3, vcc_lo, s0
	s_delay_alu instid0(SALU_CYCLE_1)
	s_and_saveexec_b32 s0, s3
	s_cbranch_execz .LBB24_349
; %bb.346:
	s_mov_b32 s1, 0
	s_mov_b32 s3, exec_lo
	v_cmpx_eq_f32_e32 v4, v2
; %bb.347:
	v_cmp_lt_f32_e32 vcc_lo, v5, v3
	s_and_b32 s1, vcc_lo, exec_lo
; %bb.348:
	s_or_b32 exec_lo, exec_lo, s3
	s_delay_alu instid0(SALU_CYCLE_1)
	s_or_not1_b32 s1, s1, exec_lo
.LBB24_349:
	s_or_b32 exec_lo, exec_lo, s0
	s_delay_alu instid0(SALU_CYCLE_1)
	s_and_b32 s1, s1, exec_lo
.LBB24_350:
	s_or_b32 exec_lo, exec_lo, s2
	s_xor_b32 s0, s1, -1
                                        ; implicit-def: $vgpr6_vgpr7
	s_delay_alu instid0(SALU_CYCLE_1) | instskip(NEXT) | instid1(SALU_CYCLE_1)
	s_and_saveexec_b32 s2, s0
	s_xor_b32 s0, exec_lo, s2
; %bb.351:
	ds_load_b64 v[6:7], v8 offset:8
                                        ; implicit-def: $vgpr12
; %bb.352:
	s_or_saveexec_b32 s0, s0
	s_wait_dscnt 0x0
	v_mov_b64_e32 v[8:9], v[4:5]
	s_xor_b32 exec_lo, exec_lo, s0
; %bb.353:
	ds_load_b64 v[8:9], v12 offset:1032
	v_mov_b64_e32 v[6:7], v[2:3]
; %bb.354:
	s_or_b32 exec_lo, exec_lo, s0
	v_dual_add_nc_u32 v12, 1, v11 :: v_dual_add_nc_u32 v13, 1, v10
	s_mov_b32 s2, 0
	s_mov_b32 s3, exec_lo
	s_delay_alu instid0(VALU_DEP_1) | instskip(NEXT) | instid1(VALU_DEP_1)
	v_dual_cndmask_b32 v14, v11, v12, s1 :: v_dual_cndmask_b32 v15, v13, v10, s1
	v_cmpx_gt_i32_e32 0x100, v14
	s_cbranch_execz .LBB24_360
; %bb.355:
	s_delay_alu instid0(VALU_DEP_2) | instskip(SKIP_4) | instid1(SALU_CYCLE_1)
	v_cmp_gt_i32_e32 vcc_lo, 0x80, v15
	s_wait_dscnt 0x0
	v_cmp_nlt_f32_e64 s0, v8, v6
	s_mov_b32 s2, -1
	s_and_b32 s4, vcc_lo, s0
	s_and_saveexec_b32 s0, s4
	s_cbranch_execz .LBB24_359
; %bb.356:
	s_mov_b32 s2, 0
	s_mov_b32 s4, exec_lo
	v_cmpx_eq_f32_e32 v8, v6
; %bb.357:
	v_cmp_lt_f32_e32 vcc_lo, v9, v7
	s_and_b32 s2, vcc_lo, exec_lo
; %bb.358:
	s_or_b32 exec_lo, exec_lo, s4
	s_delay_alu instid0(SALU_CYCLE_1)
	s_or_not1_b32 s2, s2, exec_lo
.LBB24_359:
	s_or_b32 exec_lo, exec_lo, s0
	s_delay_alu instid0(SALU_CYCLE_1)
	s_and_b32 s2, s2, exec_lo
.LBB24_360:
	s_or_b32 exec_lo, exec_lo, s3
	s_xor_b32 s0, s2, -1
                                        ; implicit-def: $vgpr10_vgpr11
	s_delay_alu instid0(SALU_CYCLE_1) | instskip(NEXT) | instid1(SALU_CYCLE_1)
	s_and_saveexec_b32 s3, s0
	s_xor_b32 s0, exec_lo, s3
; %bb.361:
	v_lshl_add_u32 v10, v15, 3, v34
	ds_load_b64 v[10:11], v10 offset:8
; %bb.362:
	s_or_saveexec_b32 s0, s0
	s_wait_dscnt 0x0
	v_mov_b64_e32 v[12:13], v[8:9]
	s_xor_b32 exec_lo, exec_lo, s0
; %bb.363:
	v_lshl_add_u32 v10, v14, 3, v34
	ds_load_b64 v[12:13], v10 offset:8
	v_mov_b64_e32 v[10:11], v[6:7]
; %bb.364:
	s_or_b32 exec_lo, exec_lo, s0
	v_dual_add_nc_u32 v16, 1, v14 :: v_dual_add_nc_u32 v17, 1, v15
	s_mov_b32 s3, 0
	s_mov_b32 s4, exec_lo
	s_delay_alu instid0(VALU_DEP_1) | instskip(NEXT) | instid1(VALU_DEP_1)
	v_dual_cndmask_b32 v18, v14, v16, s2 :: v_dual_cndmask_b32 v19, v17, v15, s2
	v_cmpx_gt_i32_e32 0x100, v18
	s_cbranch_execz .LBB24_370
; %bb.365:
	s_delay_alu instid0(VALU_DEP_2) | instskip(SKIP_4) | instid1(SALU_CYCLE_1)
	v_cmp_gt_i32_e32 vcc_lo, 0x80, v19
	s_wait_dscnt 0x0
	v_cmp_nlt_f32_e64 s0, v12, v10
	s_mov_b32 s3, -1
	s_and_b32 s5, vcc_lo, s0
	s_and_saveexec_b32 s0, s5
	s_cbranch_execz .LBB24_369
; %bb.366:
	s_mov_b32 s3, 0
	s_mov_b32 s5, exec_lo
	v_cmpx_eq_f32_e32 v12, v10
; %bb.367:
	v_cmp_lt_f32_e32 vcc_lo, v13, v11
	s_and_b32 s3, vcc_lo, exec_lo
; %bb.368:
	s_or_b32 exec_lo, exec_lo, s5
	s_delay_alu instid0(SALU_CYCLE_1)
	s_or_not1_b32 s3, s3, exec_lo
.LBB24_369:
	s_or_b32 exec_lo, exec_lo, s0
	s_delay_alu instid0(SALU_CYCLE_1)
	s_and_b32 s3, s3, exec_lo
.LBB24_370:
	s_or_b32 exec_lo, exec_lo, s4
	s_xor_b32 s0, s3, -1
                                        ; implicit-def: $vgpr14_vgpr15
	s_delay_alu instid0(SALU_CYCLE_1) | instskip(NEXT) | instid1(SALU_CYCLE_1)
	s_and_saveexec_b32 s4, s0
	s_xor_b32 s0, exec_lo, s4
; %bb.371:
	v_lshl_add_u32 v14, v19, 3, v34
	ds_load_b64 v[14:15], v14 offset:8
; %bb.372:
	s_or_saveexec_b32 s0, s0
	s_wait_dscnt 0x0
	v_mov_b64_e32 v[16:17], v[12:13]
	s_xor_b32 exec_lo, exec_lo, s0
; %bb.373:
	v_lshl_add_u32 v14, v18, 3, v34
	ds_load_b64 v[16:17], v14 offset:8
	v_mov_b64_e32 v[14:15], v[10:11]
; %bb.374:
	s_or_b32 exec_lo, exec_lo, s0
	v_dual_add_nc_u32 v20, 1, v18 :: v_dual_add_nc_u32 v21, 1, v19
	s_mov_b32 s4, 0
	s_mov_b32 s5, exec_lo
	s_delay_alu instid0(VALU_DEP_1) | instskip(NEXT) | instid1(VALU_DEP_1)
	v_dual_cndmask_b32 v22, v18, v20, s3 :: v_dual_cndmask_b32 v23, v21, v19, s3
	v_cmpx_gt_i32_e32 0x100, v22
	s_cbranch_execz .LBB24_380
; %bb.375:
	s_delay_alu instid0(VALU_DEP_2) | instskip(SKIP_4) | instid1(SALU_CYCLE_1)
	v_cmp_gt_i32_e32 vcc_lo, 0x80, v23
	s_wait_dscnt 0x0
	v_cmp_nlt_f32_e64 s0, v16, v14
	s_mov_b32 s4, -1
	s_and_b32 s6, vcc_lo, s0
	s_and_saveexec_b32 s0, s6
	s_cbranch_execz .LBB24_379
; %bb.376:
	s_mov_b32 s4, 0
	s_mov_b32 s6, exec_lo
	v_cmpx_eq_f32_e32 v16, v14
; %bb.377:
	v_cmp_lt_f32_e32 vcc_lo, v17, v15
	s_and_b32 s4, vcc_lo, exec_lo
; %bb.378:
	s_or_b32 exec_lo, exec_lo, s6
	s_delay_alu instid0(SALU_CYCLE_1)
	s_or_not1_b32 s4, s4, exec_lo
.LBB24_379:
	s_or_b32 exec_lo, exec_lo, s0
	s_delay_alu instid0(SALU_CYCLE_1)
	s_and_b32 s4, s4, exec_lo
.LBB24_380:
	s_or_b32 exec_lo, exec_lo, s5
	s_xor_b32 s0, s4, -1
                                        ; implicit-def: $vgpr18_vgpr19
	s_delay_alu instid0(SALU_CYCLE_1) | instskip(NEXT) | instid1(SALU_CYCLE_1)
	s_and_saveexec_b32 s5, s0
	s_xor_b32 s0, exec_lo, s5
; %bb.381:
	v_lshl_add_u32 v18, v23, 3, v34
	ds_load_b64 v[18:19], v18 offset:8
; %bb.382:
	s_or_saveexec_b32 s0, s0
	s_wait_dscnt 0x0
	v_mov_b64_e32 v[20:21], v[16:17]
	s_xor_b32 exec_lo, exec_lo, s0
; %bb.383:
	v_lshl_add_u32 v18, v22, 3, v34
	ds_load_b64 v[20:21], v18 offset:8
	v_mov_b64_e32 v[18:19], v[14:15]
; %bb.384:
	s_or_b32 exec_lo, exec_lo, s0
	v_dual_add_nc_u32 v24, 1, v22 :: v_dual_add_nc_u32 v25, 1, v23
	s_mov_b32 s5, 0
	s_mov_b32 s6, exec_lo
	s_delay_alu instid0(VALU_DEP_1) | instskip(NEXT) | instid1(VALU_DEP_1)
	v_dual_cndmask_b32 v26, v22, v24, s4 :: v_dual_cndmask_b32 v27, v25, v23, s4
	v_cmpx_gt_i32_e32 0x100, v26
	s_cbranch_execz .LBB24_390
; %bb.385:
	s_delay_alu instid0(VALU_DEP_2) | instskip(SKIP_4) | instid1(SALU_CYCLE_1)
	v_cmp_gt_i32_e32 vcc_lo, 0x80, v27
	s_wait_dscnt 0x0
	v_cmp_nlt_f32_e64 s0, v20, v18
	s_mov_b32 s5, -1
	s_and_b32 s7, vcc_lo, s0
	s_and_saveexec_b32 s0, s7
	s_cbranch_execz .LBB24_389
; %bb.386:
	s_mov_b32 s5, 0
	s_mov_b32 s7, exec_lo
	v_cmpx_eq_f32_e32 v20, v18
; %bb.387:
	v_cmp_lt_f32_e32 vcc_lo, v21, v19
	s_and_b32 s5, vcc_lo, exec_lo
; %bb.388:
	s_or_b32 exec_lo, exec_lo, s7
	s_delay_alu instid0(SALU_CYCLE_1)
	s_or_not1_b32 s5, s5, exec_lo
.LBB24_389:
	s_or_b32 exec_lo, exec_lo, s0
	s_delay_alu instid0(SALU_CYCLE_1)
	s_and_b32 s5, s5, exec_lo
.LBB24_390:
	s_or_b32 exec_lo, exec_lo, s6
	s_xor_b32 s0, s5, -1
                                        ; implicit-def: $vgpr22_vgpr23
	s_delay_alu instid0(SALU_CYCLE_1) | instskip(NEXT) | instid1(SALU_CYCLE_1)
	s_and_saveexec_b32 s6, s0
	s_xor_b32 s0, exec_lo, s6
; %bb.391:
	v_lshl_add_u32 v22, v27, 3, v34
	ds_load_b64 v[22:23], v22 offset:8
; %bb.392:
	s_or_saveexec_b32 s0, s0
	s_wait_dscnt 0x0
	v_mov_b64_e32 v[24:25], v[20:21]
	s_xor_b32 exec_lo, exec_lo, s0
; %bb.393:
	v_lshl_add_u32 v22, v26, 3, v34
	ds_load_b64 v[24:25], v22 offset:8
	v_mov_b64_e32 v[22:23], v[18:19]
; %bb.394:
	s_or_b32 exec_lo, exec_lo, s0
	v_dual_add_nc_u32 v28, 1, v26 :: v_dual_add_nc_u32 v29, 1, v27
	s_mov_b32 s6, 0
	s_mov_b32 s7, exec_lo
	s_delay_alu instid0(VALU_DEP_1) | instskip(NEXT) | instid1(VALU_DEP_1)
	v_dual_cndmask_b32 v30, v26, v28, s5 :: v_dual_cndmask_b32 v31, v29, v27, s5
	v_cmpx_gt_i32_e32 0x100, v30
	s_cbranch_execz .LBB24_400
; %bb.395:
	s_delay_alu instid0(VALU_DEP_2) | instskip(SKIP_4) | instid1(SALU_CYCLE_1)
	v_cmp_gt_i32_e32 vcc_lo, 0x80, v31
	s_wait_dscnt 0x0
	v_cmp_nlt_f32_e64 s0, v24, v22
	s_mov_b32 s6, -1
	s_and_b32 s8, vcc_lo, s0
	s_and_saveexec_b32 s0, s8
	s_cbranch_execz .LBB24_399
; %bb.396:
	s_mov_b32 s6, 0
	s_mov_b32 s8, exec_lo
	v_cmpx_eq_f32_e32 v24, v22
; %bb.397:
	v_cmp_lt_f32_e32 vcc_lo, v25, v23
	s_and_b32 s6, vcc_lo, exec_lo
; %bb.398:
	s_or_b32 exec_lo, exec_lo, s8
	s_delay_alu instid0(SALU_CYCLE_1)
	s_or_not1_b32 s6, s6, exec_lo
.LBB24_399:
	s_or_b32 exec_lo, exec_lo, s0
	s_delay_alu instid0(SALU_CYCLE_1)
	s_and_b32 s6, s6, exec_lo
.LBB24_400:
	s_or_b32 exec_lo, exec_lo, s7
	s_xor_b32 s0, s6, -1
                                        ; implicit-def: $vgpr26_vgpr27
	s_delay_alu instid0(SALU_CYCLE_1) | instskip(NEXT) | instid1(SALU_CYCLE_1)
	s_and_saveexec_b32 s7, s0
	s_xor_b32 s0, exec_lo, s7
; %bb.401:
	v_lshl_add_u32 v26, v31, 3, v34
	ds_load_b64 v[26:27], v26 offset:8
; %bb.402:
	s_or_saveexec_b32 s0, s0
	s_wait_dscnt 0x0
	v_mov_b64_e32 v[28:29], v[24:25]
	s_xor_b32 exec_lo, exec_lo, s0
; %bb.403:
	v_lshl_add_u32 v26, v30, 3, v34
	ds_load_b64 v[28:29], v26 offset:8
	v_mov_b64_e32 v[26:27], v[22:23]
; %bb.404:
	s_or_b32 exec_lo, exec_lo, s0
	v_dual_add_nc_u32 v32, 1, v30 :: v_dual_add_nc_u32 v33, 1, v31
	s_mov_b32 s7, 0
	s_mov_b32 s8, exec_lo
	s_delay_alu instid0(VALU_DEP_1) | instskip(NEXT) | instid1(VALU_DEP_1)
	v_dual_cndmask_b32 v36, v30, v32, s6 :: v_dual_cndmask_b32 v35, v33, v31, s6
	v_cmpx_gt_i32_e32 0x100, v36
	s_cbranch_execz .LBB24_410
; %bb.405:
	s_delay_alu instid0(VALU_DEP_2) | instskip(SKIP_4) | instid1(SALU_CYCLE_1)
	v_cmp_gt_i32_e32 vcc_lo, 0x80, v35
	s_wait_dscnt 0x0
	v_cmp_nlt_f32_e64 s0, v28, v26
	s_mov_b32 s7, -1
	s_and_b32 s9, vcc_lo, s0
	s_and_saveexec_b32 s0, s9
	s_cbranch_execz .LBB24_409
; %bb.406:
	s_mov_b32 s7, 0
	s_mov_b32 s9, exec_lo
	v_cmpx_eq_f32_e32 v28, v26
; %bb.407:
	v_cmp_lt_f32_e32 vcc_lo, v29, v27
	s_and_b32 s7, vcc_lo, exec_lo
; %bb.408:
	s_or_b32 exec_lo, exec_lo, s9
	s_delay_alu instid0(SALU_CYCLE_1)
	s_or_not1_b32 s7, s7, exec_lo
.LBB24_409:
	s_or_b32 exec_lo, exec_lo, s0
	s_delay_alu instid0(SALU_CYCLE_1)
	s_and_b32 s7, s7, exec_lo
.LBB24_410:
	s_or_b32 exec_lo, exec_lo, s8
	s_xor_b32 s0, s7, -1
                                        ; implicit-def: $vgpr30_vgpr31
	s_delay_alu instid0(SALU_CYCLE_1) | instskip(NEXT) | instid1(SALU_CYCLE_1)
	s_and_saveexec_b32 s8, s0
	s_xor_b32 s0, exec_lo, s8
; %bb.411:
	v_lshl_add_u32 v30, v35, 3, v34
                                        ; implicit-def: $vgpr34
	ds_load_b64 v[30:31], v30 offset:8
; %bb.412:
	s_or_saveexec_b32 s0, s0
	s_wait_dscnt 0x0
	v_mov_b64_e32 v[32:33], v[28:29]
	s_xor_b32 exec_lo, exec_lo, s0
; %bb.413:
	v_lshl_add_u32 v30, v36, 3, v34
	ds_load_b64 v[32:33], v30 offset:8
	v_mov_b64_e32 v[30:31], v[26:27]
; %bb.414:
	s_or_b32 exec_lo, exec_lo, s0
	v_add_nc_u32_e32 v34, 1, v36
	s_mov_b32 s0, 0
	s_mov_b32 s8, exec_lo
	s_delay_alu instid0(VALU_DEP_1) | instskip(NEXT) | instid1(VALU_DEP_1)
	v_cndmask_b32_e64 v34, v36, v34, s7
	v_cmpx_gt_i32_e32 0x100, v34
	s_cbranch_execz .LBB24_420
; %bb.415:
	v_add_nc_u32_e32 v34, 1, v35
	s_wait_dscnt 0x0
	v_cmp_nlt_f32_e32 vcc_lo, v32, v30
	s_mov_b32 s9, -1
	s_delay_alu instid0(VALU_DEP_2) | instskip(NEXT) | instid1(VALU_DEP_1)
	v_cndmask_b32_e64 v34, v34, v35, s7
	v_cmp_gt_i32_e64 s0, 0x80, v34
	s_and_b32 s10, s0, vcc_lo
	s_delay_alu instid0(SALU_CYCLE_1)
	s_and_saveexec_b32 s0, s10
	s_cbranch_execz .LBB24_419
; %bb.416:
	s_mov_b32 s9, 0
	s_mov_b32 s10, exec_lo
	v_cmpx_eq_f32_e32 v32, v30
; %bb.417:
	v_cmp_lt_f32_e32 vcc_lo, v33, v31
	s_and_b32 s9, vcc_lo, exec_lo
; %bb.418:
	s_or_b32 exec_lo, exec_lo, s10
	s_delay_alu instid0(SALU_CYCLE_1)
	s_or_not1_b32 s9, s9, exec_lo
.LBB24_419:
	s_or_b32 exec_lo, exec_lo, s0
	s_delay_alu instid0(SALU_CYCLE_1)
	s_and_b32 s0, s9, exec_lo
.LBB24_420:
	s_or_b32 exec_lo, exec_lo, s8
	v_dual_cndmask_b32 v13, v11, v13, s3 :: v_dual_cndmask_b32 v6, v6, v8, s2
	v_dual_cndmask_b32 v7, v7, v9, s2 :: v_dual_cndmask_b32 v4, v2, v4, s1
	;; [unrolled: 1-line block ×7, first 2 shown]
	s_wait_dscnt 0x0
	v_dual_cndmask_b32 v29, v31, v33, s0 :: v_dual_cndmask_b32 v28, v30, v32, s0
	s_clause 0x3
	global_store_b128 v[0:1], v[4:7], off
	global_store_b128 v[0:1], v[12:15], off offset:16
	global_store_b128 v[0:1], v[20:23], off offset:32
	;; [unrolled: 1-line block ×3, first 2 shown]
	s_endpgm
	.section	.rodata,"a",@progbits
	.p2align	6, 0x0
	.amdhsa_kernel _Z14sort_keys_fullILj256ELj32ELj8ELb0EN10test_utils16custom_test_typeIfEENS0_4lessEEvPT3_T4_
		.amdhsa_group_segment_fixed_size 16448
		.amdhsa_private_segment_fixed_size 0
		.amdhsa_kernarg_size 12
		.amdhsa_user_sgpr_count 2
		.amdhsa_user_sgpr_dispatch_ptr 0
		.amdhsa_user_sgpr_queue_ptr 0
		.amdhsa_user_sgpr_kernarg_segment_ptr 1
		.amdhsa_user_sgpr_dispatch_id 0
		.amdhsa_user_sgpr_kernarg_preload_length 0
		.amdhsa_user_sgpr_kernarg_preload_offset 0
		.amdhsa_user_sgpr_private_segment_size 0
		.amdhsa_wavefront_size32 1
		.amdhsa_uses_dynamic_stack 0
		.amdhsa_enable_private_segment 0
		.amdhsa_system_sgpr_workgroup_id_x 1
		.amdhsa_system_sgpr_workgroup_id_y 0
		.amdhsa_system_sgpr_workgroup_id_z 0
		.amdhsa_system_sgpr_workgroup_info 0
		.amdhsa_system_vgpr_workitem_id 0
		.amdhsa_next_free_vgpr 42
		.amdhsa_next_free_sgpr 14
		.amdhsa_named_barrier_count 0
		.amdhsa_reserve_vcc 1
		.amdhsa_float_round_mode_32 0
		.amdhsa_float_round_mode_16_64 0
		.amdhsa_float_denorm_mode_32 3
		.amdhsa_float_denorm_mode_16_64 3
		.amdhsa_fp16_overflow 0
		.amdhsa_memory_ordered 1
		.amdhsa_forward_progress 1
		.amdhsa_inst_pref_size 95
		.amdhsa_round_robin_scheduling 0
		.amdhsa_exception_fp_ieee_invalid_op 0
		.amdhsa_exception_fp_denorm_src 0
		.amdhsa_exception_fp_ieee_div_zero 0
		.amdhsa_exception_fp_ieee_overflow 0
		.amdhsa_exception_fp_ieee_underflow 0
		.amdhsa_exception_fp_ieee_inexact 0
		.amdhsa_exception_int_div_zero 0
	.end_amdhsa_kernel
	.section	.text._Z14sort_keys_fullILj256ELj32ELj8ELb0EN10test_utils16custom_test_typeIfEENS0_4lessEEvPT3_T4_,"axG",@progbits,_Z14sort_keys_fullILj256ELj32ELj8ELb0EN10test_utils16custom_test_typeIfEENS0_4lessEEvPT3_T4_,comdat
.Lfunc_end24:
	.size	_Z14sort_keys_fullILj256ELj32ELj8ELb0EN10test_utils16custom_test_typeIfEENS0_4lessEEvPT3_T4_, .Lfunc_end24-_Z14sort_keys_fullILj256ELj32ELj8ELb0EN10test_utils16custom_test_typeIfEENS0_4lessEEvPT3_T4_
                                        ; -- End function
	.set _Z14sort_keys_fullILj256ELj32ELj8ELb0EN10test_utils16custom_test_typeIfEENS0_4lessEEvPT3_T4_.num_vgpr, 42
	.set _Z14sort_keys_fullILj256ELj32ELj8ELb0EN10test_utils16custom_test_typeIfEENS0_4lessEEvPT3_T4_.num_agpr, 0
	.set _Z14sort_keys_fullILj256ELj32ELj8ELb0EN10test_utils16custom_test_typeIfEENS0_4lessEEvPT3_T4_.numbered_sgpr, 14
	.set _Z14sort_keys_fullILj256ELj32ELj8ELb0EN10test_utils16custom_test_typeIfEENS0_4lessEEvPT3_T4_.num_named_barrier, 0
	.set _Z14sort_keys_fullILj256ELj32ELj8ELb0EN10test_utils16custom_test_typeIfEENS0_4lessEEvPT3_T4_.private_seg_size, 0
	.set _Z14sort_keys_fullILj256ELj32ELj8ELb0EN10test_utils16custom_test_typeIfEENS0_4lessEEvPT3_T4_.uses_vcc, 1
	.set _Z14sort_keys_fullILj256ELj32ELj8ELb0EN10test_utils16custom_test_typeIfEENS0_4lessEEvPT3_T4_.uses_flat_scratch, 0
	.set _Z14sort_keys_fullILj256ELj32ELj8ELb0EN10test_utils16custom_test_typeIfEENS0_4lessEEvPT3_T4_.has_dyn_sized_stack, 0
	.set _Z14sort_keys_fullILj256ELj32ELj8ELb0EN10test_utils16custom_test_typeIfEENS0_4lessEEvPT3_T4_.has_recursion, 0
	.set _Z14sort_keys_fullILj256ELj32ELj8ELb0EN10test_utils16custom_test_typeIfEENS0_4lessEEvPT3_T4_.has_indirect_call, 0
	.section	.AMDGPU.csdata,"",@progbits
; Kernel info:
; codeLenInByte = 12120
; TotalNumSgprs: 16
; NumVgprs: 42
; ScratchSize: 0
; MemoryBound: 0
; FloatMode: 240
; IeeeMode: 1
; LDSByteSize: 16448 bytes/workgroup (compile time only)
; SGPRBlocks: 0
; VGPRBlocks: 2
; NumSGPRsForWavesPerEU: 16
; NumVGPRsForWavesPerEU: 42
; NamedBarCnt: 0
; Occupancy: 16
; WaveLimiterHint : 0
; COMPUTE_PGM_RSRC2:SCRATCH_EN: 0
; COMPUTE_PGM_RSRC2:USER_SGPR: 2
; COMPUTE_PGM_RSRC2:TRAP_HANDLER: 0
; COMPUTE_PGM_RSRC2:TGID_X_EN: 1
; COMPUTE_PGM_RSRC2:TGID_Y_EN: 0
; COMPUTE_PGM_RSRC2:TGID_Z_EN: 0
; COMPUTE_PGM_RSRC2:TIDIG_COMP_CNT: 0
	.section	.text._Z14sort_keys_fullILj256ELj32ELj4ELb0EN10test_utils16custom_test_typeIfEENS0_4lessEEvPT3_T4_,"axG",@progbits,_Z14sort_keys_fullILj256ELj32ELj4ELb0EN10test_utils16custom_test_typeIfEENS0_4lessEEvPT3_T4_,comdat
	.protected	_Z14sort_keys_fullILj256ELj32ELj4ELb0EN10test_utils16custom_test_typeIfEENS0_4lessEEvPT3_T4_ ; -- Begin function _Z14sort_keys_fullILj256ELj32ELj4ELb0EN10test_utils16custom_test_typeIfEENS0_4lessEEvPT3_T4_
	.globl	_Z14sort_keys_fullILj256ELj32ELj4ELb0EN10test_utils16custom_test_typeIfEENS0_4lessEEvPT3_T4_
	.p2align	8
	.type	_Z14sort_keys_fullILj256ELj32ELj4ELb0EN10test_utils16custom_test_typeIfEENS0_4lessEEvPT3_T4_,@function
_Z14sort_keys_fullILj256ELj32ELj4ELb0EN10test_utils16custom_test_typeIfEENS0_4lessEEvPT3_T4_: ; @_Z14sort_keys_fullILj256ELj32ELj4ELb0EN10test_utils16custom_test_typeIfEENS0_4lessEEvPT3_T4_
; %bb.0:
	s_load_b64 s[0:1], s[0:1], 0x0
	s_bfe_u32 s2, ttmp6, 0x4000c
	s_and_b32 s3, ttmp6, 15
	s_add_co_i32 s2, s2, 1
	s_getreg_b32 s4, hwreg(HW_REG_IB_STS2, 6, 4)
	s_mul_i32 s2, ttmp9, s2
	s_mov_b32 s5, 0
	s_add_co_i32 s3, s3, s2
	s_cmp_eq_u32 s4, 0
	v_dual_mov_b32 v3, 0 :: v_dual_lshlrev_b32 v2, 5, v0
	s_cselect_b32 s2, ttmp9, s3
	v_mbcnt_lo_u32_b32 v1, -1, 0
	s_lshl_b32 s4, s2, 10
	v_lshrrev_b32_e32 v4, 5, v0
	s_lshl_b64 s[2:3], s[4:5], 3
	s_delay_alu instid0(VALU_DEP_2)
	v_dual_mov_b32 v10, v3 :: v_dual_lshlrev_b32 v19, 2, v1
	v_lshlrev_b32_e32 v0, 5, v1
	s_wait_kmcnt 0x0
	s_add_nc_u64 s[6:7], s[0:1], s[2:3]
	s_clause 0x1
	global_load_b128 v[6:9], v2, s[6:7]
	global_load_b128 v[12:15], v2, s[6:7] offset:16
	v_mad_u32_u24 v20, 0x408, v4, v0
	; wave barrier
	s_wait_loadcnt 0x1
	v_cmp_neq_f32_e32 vcc_lo, v8, v6
	v_cmp_nlt_f32_e64 s0, v9, v7
	s_wait_loadcnt 0x0
	v_cmp_neq_f32_e64 s1, v14, v12
	v_cmp_nlt_f32_e64 s2, v15, v13
	v_cmp_nlt_f32_e64 s3, v8, v6
	;; [unrolled: 1-line block ×3, first 2 shown]
	s_or_b32 s0, vcc_lo, s0
	s_or_b32 s1, s1, s2
	s_and_b32 vcc_lo, s3, s0
	s_and_b32 s0, s4, s1
	v_dual_cndmask_b32 v5, v7, v9 :: v_dual_cndmask_b32 v16, v6, v8
	v_dual_cndmask_b32 v11, v15, v13, s0 :: v_dual_cndmask_b32 v17, v14, v12, s0
	v_dual_cndmask_b32 v0, v9, v7 :: v_dual_cndmask_b32 v1, v8, v6
	v_dual_cndmask_b32 v6, v13, v15, s0 :: v_dual_cndmask_b32 v7, v12, v14, s0
	s_delay_alu instid0(VALU_DEP_3) | instskip(NEXT) | instid1(VALU_DEP_4)
	v_cmp_nlt_f32_e64 s1, v11, v5
	v_cmp_neq_f32_e64 s2, v17, v16
	v_cmp_nlt_f32_e64 s3, v17, v16
	s_or_b32 s1, s2, s1
	s_delay_alu instid0(SALU_CYCLE_1) | instskip(NEXT) | instid1(SALU_CYCLE_1)
	s_and_b32 vcc_lo, s3, s1
	v_dual_cndmask_b32 v8, v11, v5, vcc_lo :: v_dual_cndmask_b32 v12, v17, v16, vcc_lo
	v_dual_cndmask_b32 v14, v16, v17 :: v_dual_cndmask_b32 v5, v5, v11
	v_and_b32_e32 v11, 0x78, v19
	s_delay_alu instid0(VALU_DEP_3) | instskip(NEXT) | instid1(VALU_DEP_4)
	v_cmp_nlt_f32_e32 vcc_lo, v8, v0
	v_cmp_neq_f32_e64 s0, v12, v1
	s_delay_alu instid0(VALU_DEP_4)
	v_cmp_neq_f32_e64 s1, v7, v14
	v_cmp_nlt_f32_e64 s2, v6, v5
	v_cmp_nlt_f32_e64 s3, v12, v1
	;; [unrolled: 1-line block ×3, first 2 shown]
	s_or_b32 s0, s0, vcc_lo
	s_or_b32 s1, s1, s2
	s_and_b32 vcc_lo, s3, s0
	s_and_b32 s0, s4, s1
	s_delay_alu instid0(SALU_CYCLE_1) | instskip(SKIP_3) | instid1(VALU_DEP_3)
	v_dual_cndmask_b32 v16, v0, v8, vcc_lo :: v_dual_cndmask_b32 v13, v5, v6, s0
	v_dual_cndmask_b32 v18, v1, v12, vcc_lo :: v_dual_cndmask_b32 v22, v7, v14, s0
	v_dual_cndmask_b32 v17, v6, v5, s0 :: v_dual_bitop2_b32 v21, 4, v11 bitop3:0x54
	v_dual_cndmask_b32 v9, v8, v0 :: v_dual_lshlrev_b32 v0, 3, v11
	v_cmp_neq_f32_e64 s1, v22, v18
	s_delay_alu instid0(VALU_DEP_3)
	v_cmp_nlt_f32_e64 s2, v17, v16
	v_and_b32_e32 v6, 4, v19
	v_sub_nc_u32_e32 v8, v21, v11
	v_cmp_nlt_f32_e64 s3, v22, v18
	v_mad_u32_u24 v5, 0x408, v4, v0
	s_or_b32 s1, s1, s2
	v_dual_cndmask_b32 v8, v12, v1, vcc_lo :: v_dual_min_i32 v0, v6, v8
	s_and_b32 vcc_lo, s3, s1
	s_delay_alu instid0(SALU_CYCLE_1)
	v_dual_cndmask_b32 v12, v14, v7, s0 :: v_dual_cndmask_b32 v15, v17, v16, vcc_lo
	v_dual_cndmask_b32 v14, v22, v18 :: v_dual_cndmask_b32 v17, v16, v17
	v_cndmask_b32_e32 v16, v18, v22, vcc_lo
	s_mov_b32 s0, exec_lo
	ds_store_2addr_b64 v20, v[8:9], v[14:15] offset1:1
	ds_store_2addr_b64 v20, v[16:17], v[12:13] offset0:2 offset1:3
	; wave barrier
	v_cmpx_lt_i32_e32 0, v0
	s_cbranch_execz .LBB25_8
; %bb.1:
	v_lshl_add_u32 v1, v6, 3, v5
	v_mov_b32_e32 v10, v3
                                        ; implicit-def: $sgpr1
	s_branch .LBB25_4
.LBB25_2:                               ;   in Loop: Header=BB25_4 Depth=1
	s_or_b32 exec_lo, exec_lo, s4
	s_delay_alu instid0(SALU_CYCLE_1) | instskip(SKIP_1) | instid1(SALU_CYCLE_1)
	s_and_not1_b32 s1, s1, exec_lo
	s_and_b32 s3, s3, exec_lo
	s_or_b32 s1, s1, s3
.LBB25_3:                               ;   in Loop: Header=BB25_4 Depth=1
	s_or_b32 exec_lo, exec_lo, s2
	v_dual_add_nc_u32 v8, 1, v7 :: v_dual_cndmask_b32 v0, v0, v7, s1
	s_delay_alu instid0(VALU_DEP_1) | instskip(NEXT) | instid1(VALU_DEP_1)
	v_cndmask_b32_e64 v10, v8, v10, s1
	v_cmp_ge_i32_e32 vcc_lo, v10, v0
	s_or_b32 s5, vcc_lo, s5
	s_delay_alu instid0(SALU_CYCLE_1)
	s_and_not1_b32 exec_lo, exec_lo, s5
	s_cbranch_execz .LBB25_7
.LBB25_4:                               ; =>This Inner Loop Header: Depth=1
	s_delay_alu instid0(VALU_DEP_1) | instskip(SKIP_2) | instid1(VALU_DEP_1)
	v_sub_nc_u32_e32 v7, v0, v10
	s_or_b32 s1, s1, exec_lo
	s_mov_b32 s2, exec_lo
	v_lshrrev_b32_e32 v7, 1, v7
	s_delay_alu instid0(VALU_DEP_1) | instskip(NEXT) | instid1(VALU_DEP_1)
	v_add_nc_u32_e32 v7, v7, v10
	v_not_b32_e32 v9, v7
	v_lshl_add_u32 v8, v7, 3, v5
	s_delay_alu instid0(VALU_DEP_2)
	v_lshl_add_u32 v9, v9, 3, v1
	ds_load_b32 v12, v8
	ds_load_b32 v13, v9 offset:32
	s_wait_dscnt 0x0
	v_cmpx_nlt_f32_e32 v13, v12
	s_cbranch_execz .LBB25_3
; %bb.5:                                ;   in Loop: Header=BB25_4 Depth=1
	s_mov_b32 s3, 0
	s_mov_b32 s4, exec_lo
	v_cmpx_eq_f32_e32 v13, v12
	s_cbranch_execz .LBB25_2
; %bb.6:                                ;   in Loop: Header=BB25_4 Depth=1
	ds_load_b32 v9, v9 offset:36
	ds_load_b32 v8, v8 offset:4
	s_wait_dscnt 0x0
	v_cmp_lt_f32_e32 vcc_lo, v9, v8
	s_and_b32 s3, vcc_lo, exec_lo
	s_branch .LBB25_2
.LBB25_7:
	s_or_b32 exec_lo, exec_lo, s5
.LBB25_8:
	s_delay_alu instid0(SALU_CYCLE_1) | instskip(SKIP_4) | instid1(VALU_DEP_3)
	s_or_b32 exec_lo, exec_lo, s0
	v_add_nc_u64_e32 v[0:1], s[6:7], v[2:3]
	v_dual_add_nc_u32 v2, v11, v6 :: v_dual_add_nc_u32 v6, v21, v6
	v_mul_u32_u24_e32 v18, 0x408, v4
	v_lshl_add_u32 v8, v10, 3, v5
	v_dual_add_nc_u32 v22, 8, v11 :: v_dual_sub_nc_u32 v2, v2, v10
	s_delay_alu instid0(VALU_DEP_4) | instskip(SKIP_1) | instid1(VALU_DEP_2)
	v_sub_nc_u32_e32 v12, v6, v10
	s_mov_b32 s0, exec_lo
	v_lshl_add_u32 v13, v2, 3, v18
	ds_load_b64 v[2:3], v8
	ds_load_b64 v[4:5], v13 offset:32
	v_cmpx_le_i32_e64 v22, v12
	s_xor_b32 s0, exec_lo, s0
	s_delay_alu instid0(SALU_CYCLE_1)
	s_or_saveexec_b32 s2, s0
	s_mov_b32 s1, 0
	s_xor_b32 exec_lo, exec_lo, s2
	s_cbranch_execz .LBB25_14
; %bb.9:
	v_cmp_gt_i32_e32 vcc_lo, 4, v10
	s_wait_dscnt 0x0
	v_cmp_nlt_f32_e64 s0, v4, v2
	s_mov_b32 s1, -1
	s_and_b32 s3, vcc_lo, s0
	s_delay_alu instid0(SALU_CYCLE_1)
	s_and_saveexec_b32 s0, s3
	s_cbranch_execz .LBB25_13
; %bb.10:
	s_mov_b32 s1, 0
	s_mov_b32 s3, exec_lo
	v_cmpx_eq_f32_e32 v4, v2
; %bb.11:
	v_cmp_lt_f32_e32 vcc_lo, v5, v3
	s_and_b32 s1, vcc_lo, exec_lo
; %bb.12:
	s_or_b32 exec_lo, exec_lo, s3
	s_delay_alu instid0(SALU_CYCLE_1)
	s_or_not1_b32 s1, s1, exec_lo
.LBB25_13:
	s_or_b32 exec_lo, exec_lo, s0
	s_delay_alu instid0(SALU_CYCLE_1)
	s_and_b32 s1, s1, exec_lo
.LBB25_14:
	s_or_b32 exec_lo, exec_lo, s2
	s_xor_b32 s0, s1, -1
                                        ; implicit-def: $vgpr6_vgpr7
	s_delay_alu instid0(SALU_CYCLE_1) | instskip(NEXT) | instid1(SALU_CYCLE_1)
	s_and_saveexec_b32 s2, s0
	s_xor_b32 s0, exec_lo, s2
; %bb.15:
	ds_load_b64 v[6:7], v8 offset:8
                                        ; implicit-def: $vgpr13
; %bb.16:
	s_or_saveexec_b32 s0, s0
	s_wait_dscnt 0x0
	v_mov_b64_e32 v[8:9], v[4:5]
	s_xor_b32 exec_lo, exec_lo, s0
; %bb.17:
	ds_load_b64 v[8:9], v13 offset:40
	v_mov_b64_e32 v[6:7], v[2:3]
; %bb.18:
	s_or_b32 exec_lo, exec_lo, s0
	v_dual_add_nc_u32 v10, v10, v11 :: v_dual_add_nc_u32 v11, 1, v12
	s_mov_b32 s2, 0
	s_mov_b32 s3, exec_lo
	s_delay_alu instid0(VALU_DEP_1) | instskip(NEXT) | instid1(VALU_DEP_1)
	v_dual_add_nc_u32 v13, 1, v10 :: v_dual_cndmask_b32 v15, v12, v11, s1
	v_cndmask_b32_e64 v14, v13, v10, s1
	s_delay_alu instid0(VALU_DEP_2)
	v_cmpx_lt_i32_e64 v15, v22
	s_cbranch_execz .LBB25_24
; %bb.19:
	s_delay_alu instid0(VALU_DEP_2) | instskip(SKIP_4) | instid1(SALU_CYCLE_1)
	v_cmp_lt_i32_e32 vcc_lo, v14, v21
	s_wait_dscnt 0x0
	v_cmp_nlt_f32_e64 s0, v8, v6
	s_mov_b32 s2, -1
	s_and_b32 s4, vcc_lo, s0
	s_and_saveexec_b32 s0, s4
	s_cbranch_execz .LBB25_23
; %bb.20:
	s_mov_b32 s2, 0
	s_mov_b32 s4, exec_lo
	v_cmpx_eq_f32_e32 v8, v6
; %bb.21:
	v_cmp_lt_f32_e32 vcc_lo, v9, v7
	s_and_b32 s2, vcc_lo, exec_lo
; %bb.22:
	s_or_b32 exec_lo, exec_lo, s4
	s_delay_alu instid0(SALU_CYCLE_1)
	s_or_not1_b32 s2, s2, exec_lo
.LBB25_23:
	s_or_b32 exec_lo, exec_lo, s0
	s_delay_alu instid0(SALU_CYCLE_1)
	s_and_b32 s2, s2, exec_lo
.LBB25_24:
	s_or_b32 exec_lo, exec_lo, s3
	s_xor_b32 s0, s2, -1
                                        ; implicit-def: $vgpr10_vgpr11
	s_delay_alu instid0(SALU_CYCLE_1) | instskip(NEXT) | instid1(SALU_CYCLE_1)
	s_and_saveexec_b32 s3, s0
	s_xor_b32 s0, exec_lo, s3
; %bb.25:
	v_lshl_add_u32 v10, v14, 3, v18
	ds_load_b64 v[10:11], v10 offset:8
; %bb.26:
	s_or_saveexec_b32 s0, s0
	s_wait_dscnt 0x0
	v_mov_b64_e32 v[12:13], v[8:9]
	s_xor_b32 exec_lo, exec_lo, s0
; %bb.27:
	v_lshl_add_u32 v10, v15, 3, v18
	ds_load_b64 v[12:13], v10 offset:8
	v_mov_b64_e32 v[10:11], v[6:7]
; %bb.28:
	s_or_b32 exec_lo, exec_lo, s0
	v_add_nc_u32_e32 v16, 1, v15
	s_mov_b32 s0, exec_lo
	s_delay_alu instid0(VALU_DEP_1) | instskip(NEXT) | instid1(VALU_DEP_1)
	v_dual_cndmask_b32 v23, v15, v16, s2 :: v_dual_add_nc_u32 v15, 1, v14
	v_cmpx_ge_i32_e64 v23, v22
	s_xor_b32 s0, exec_lo, s0
	s_delay_alu instid0(SALU_CYCLE_1) | instskip(NEXT) | instid1(VALU_DEP_2)
	s_or_saveexec_b32 s4, s0
	v_cndmask_b32_e64 v24, v15, v14, s2
	s_mov_b32 s3, 0
	s_xor_b32 exec_lo, exec_lo, s4
	s_cbranch_execz .LBB25_34
; %bb.29:
	s_delay_alu instid0(VALU_DEP_1) | instskip(SKIP_4) | instid1(SALU_CYCLE_1)
	v_cmp_lt_i32_e32 vcc_lo, v24, v21
	s_wait_dscnt 0x0
	v_cmp_nlt_f32_e64 s0, v12, v10
	s_mov_b32 s3, -1
	s_and_b32 s5, vcc_lo, s0
	s_and_saveexec_b32 s0, s5
	s_cbranch_execz .LBB25_33
; %bb.30:
	s_mov_b32 s3, 0
	s_mov_b32 s5, exec_lo
	v_cmpx_eq_f32_e32 v12, v10
; %bb.31:
	v_cmp_lt_f32_e32 vcc_lo, v13, v11
	s_and_b32 s3, vcc_lo, exec_lo
; %bb.32:
	s_or_b32 exec_lo, exec_lo, s5
	s_delay_alu instid0(SALU_CYCLE_1)
	s_or_not1_b32 s3, s3, exec_lo
.LBB25_33:
	s_or_b32 exec_lo, exec_lo, s0
	s_delay_alu instid0(SALU_CYCLE_1)
	s_and_b32 s3, s3, exec_lo
.LBB25_34:
	s_or_b32 exec_lo, exec_lo, s4
	s_xor_b32 s0, s3, -1
                                        ; implicit-def: $vgpr14_vgpr15
	s_delay_alu instid0(SALU_CYCLE_1) | instskip(NEXT) | instid1(SALU_CYCLE_1)
	s_and_saveexec_b32 s4, s0
	s_xor_b32 s0, exec_lo, s4
; %bb.35:
	v_lshl_add_u32 v14, v24, 3, v18
	ds_load_b64 v[14:15], v14 offset:8
; %bb.36:
	s_or_saveexec_b32 s0, s0
	s_wait_dscnt 0x0
	v_mov_b64_e32 v[16:17], v[12:13]
	s_xor_b32 exec_lo, exec_lo, s0
; %bb.37:
	v_lshl_add_u32 v14, v23, 3, v18
	ds_load_b64 v[16:17], v14 offset:8
	v_mov_b64_e32 v[14:15], v[10:11]
; %bb.38:
	s_or_b32 exec_lo, exec_lo, s0
	v_add_nc_u32_e32 v25, 1, v23
	s_mov_b32 s0, 0
	s_mov_b32 s4, exec_lo
	s_delay_alu instid0(VALU_DEP_1) | instskip(NEXT) | instid1(VALU_DEP_1)
	v_cndmask_b32_e64 v23, v23, v25, s3
	v_cmpx_lt_i32_e64 v23, v22
	s_cbranch_execz .LBB25_44
; %bb.39:
	v_add_nc_u32_e32 v22, 1, v24
	s_wait_dscnt 0x0
	v_cmp_nlt_f32_e32 vcc_lo, v16, v14
	s_mov_b32 s5, -1
	s_delay_alu instid0(VALU_DEP_2) | instskip(NEXT) | instid1(VALU_DEP_1)
	v_cndmask_b32_e64 v22, v22, v24, s3
	v_cmp_lt_i32_e64 s0, v22, v21
	s_and_b32 s6, s0, vcc_lo
	s_delay_alu instid0(SALU_CYCLE_1)
	s_and_saveexec_b32 s0, s6
	s_cbranch_execz .LBB25_43
; %bb.40:
	s_mov_b32 s5, 0
	s_mov_b32 s6, exec_lo
	v_cmpx_eq_f32_e32 v16, v14
; %bb.41:
	v_cmp_lt_f32_e32 vcc_lo, v17, v15
	s_and_b32 s5, vcc_lo, exec_lo
; %bb.42:
	s_or_b32 exec_lo, exec_lo, s6
	s_delay_alu instid0(SALU_CYCLE_1)
	s_or_not1_b32 s5, s5, exec_lo
.LBB25_43:
	s_or_b32 exec_lo, exec_lo, s0
	s_delay_alu instid0(SALU_CYCLE_1)
	s_and_b32 s0, s5, exec_lo
.LBB25_44:
	s_or_b32 exec_lo, exec_lo, s4
	v_and_b32_e32 v23, 0x70, v19
	v_dual_cndmask_b32 v12, v10, v12, s3 :: v_dual_cndmask_b32 v13, v11, v13, s3
	v_dual_cndmask_b32 v8, v6, v8, s2 :: v_dual_cndmask_b32 v9, v7, v9, s2
	v_and_b32_e32 v6, 12, v19
	s_wait_dscnt 0x0
	v_dual_cndmask_b32 v15, v15, v17, s0 :: v_dual_bitop2_b32 v21, 8, v23 bitop3:0x54
	v_cndmask_b32_e64 v14, v14, v16, s0
	s_mov_b32 s0, exec_lo
	s_delay_alu instid0(VALU_DEP_2) | instskip(SKIP_3) | instid1(VALU_DEP_4)
	v_dual_cndmask_b32 v4, v2, v4, s1 :: v_dual_sub_nc_u32 v7, v21, v23
	v_cndmask_b32_e64 v5, v3, v5, s1
	v_sub_nc_u32_e64 v10, v6, 8 clamp
	v_lshl_add_u32 v2, v23, 3, v18
	v_min_i32_e32 v3, v6, v7
	; wave barrier
	ds_store_2addr_b64 v20, v[4:5], v[8:9] offset1:1
	ds_store_2addr_b64 v20, v[12:13], v[14:15] offset0:2 offset1:3
	; wave barrier
	v_cmpx_lt_i32_e64 v10, v3
	s_cbranch_execz .LBB25_52
; %bb.45:
	v_lshl_add_u32 v4, v6, 3, v2
	s_mov_b32 s1, 0
                                        ; implicit-def: $sgpr2
	s_branch .LBB25_48
.LBB25_46:                              ;   in Loop: Header=BB25_48 Depth=1
	s_or_b32 exec_lo, exec_lo, s5
	s_delay_alu instid0(SALU_CYCLE_1) | instskip(SKIP_1) | instid1(SALU_CYCLE_1)
	s_and_not1_b32 s2, s2, exec_lo
	s_and_b32 s4, s4, exec_lo
	s_or_b32 s2, s2, s4
.LBB25_47:                              ;   in Loop: Header=BB25_48 Depth=1
	s_or_b32 exec_lo, exec_lo, s3
	v_dual_add_nc_u32 v7, 1, v5 :: v_dual_cndmask_b32 v3, v3, v5, s2
	s_delay_alu instid0(VALU_DEP_1) | instskip(NEXT) | instid1(VALU_DEP_1)
	v_cndmask_b32_e64 v10, v7, v10, s2
	v_cmp_ge_i32_e32 vcc_lo, v10, v3
	s_or_b32 s1, vcc_lo, s1
	s_delay_alu instid0(SALU_CYCLE_1)
	s_and_not1_b32 exec_lo, exec_lo, s1
	s_cbranch_execz .LBB25_51
.LBB25_48:                              ; =>This Inner Loop Header: Depth=1
	v_sub_nc_u32_e32 v5, v3, v10
	s_or_b32 s2, s2, exec_lo
	s_mov_b32 s3, exec_lo
	s_delay_alu instid0(VALU_DEP_1) | instskip(NEXT) | instid1(VALU_DEP_1)
	v_lshrrev_b32_e32 v5, 1, v5
	v_add_nc_u32_e32 v5, v5, v10
	s_delay_alu instid0(VALU_DEP_1) | instskip(SKIP_1) | instid1(VALU_DEP_2)
	v_not_b32_e32 v8, v5
	v_lshl_add_u32 v7, v5, 3, v2
	v_lshl_add_u32 v8, v8, 3, v4
	ds_load_b32 v9, v7
	ds_load_b32 v11, v8 offset:64
	s_wait_dscnt 0x0
	v_cmpx_nlt_f32_e32 v11, v9
	s_cbranch_execz .LBB25_47
; %bb.49:                               ;   in Loop: Header=BB25_48 Depth=1
	s_mov_b32 s4, 0
	s_mov_b32 s5, exec_lo
	v_cmpx_eq_f32_e32 v11, v9
	s_cbranch_execz .LBB25_46
; %bb.50:                               ;   in Loop: Header=BB25_48 Depth=1
	ds_load_b32 v8, v8 offset:68
	ds_load_b32 v7, v7 offset:4
	s_wait_dscnt 0x0
	v_cmp_lt_f32_e32 vcc_lo, v8, v7
	s_and_b32 s4, vcc_lo, exec_lo
	s_branch .LBB25_46
.LBB25_51:
	s_or_b32 exec_lo, exec_lo, s1
.LBB25_52:
	s_delay_alu instid0(SALU_CYCLE_1) | instskip(SKIP_3) | instid1(VALU_DEP_2)
	s_or_b32 exec_lo, exec_lo, s0
	v_dual_add_nc_u32 v3, v23, v6 :: v_dual_add_nc_u32 v6, v21, v6
	v_lshl_add_u32 v8, v10, 3, v2
	s_mov_b32 s0, exec_lo
	v_dual_add_nc_u32 v22, 16, v23 :: v_dual_sub_nc_u32 v3, v3, v10
	s_delay_alu instid0(VALU_DEP_3) | instskip(NEXT) | instid1(VALU_DEP_2)
	v_sub_nc_u32_e32 v11, v6, v10
	v_lshl_add_u32 v12, v3, 3, v18
	ds_load_b64 v[2:3], v8
	ds_load_b64 v[4:5], v12 offset:64
	v_cmpx_le_i32_e64 v22, v11
	s_xor_b32 s0, exec_lo, s0
	s_delay_alu instid0(SALU_CYCLE_1)
	s_or_saveexec_b32 s2, s0
	s_mov_b32 s1, 0
	s_xor_b32 exec_lo, exec_lo, s2
	s_cbranch_execz .LBB25_58
; %bb.53:
	v_cmp_gt_i32_e32 vcc_lo, 8, v10
	s_wait_dscnt 0x0
	v_cmp_nlt_f32_e64 s0, v4, v2
	s_mov_b32 s1, -1
	s_and_b32 s3, vcc_lo, s0
	s_delay_alu instid0(SALU_CYCLE_1)
	s_and_saveexec_b32 s0, s3
	s_cbranch_execz .LBB25_57
; %bb.54:
	s_mov_b32 s1, 0
	s_mov_b32 s3, exec_lo
	v_cmpx_eq_f32_e32 v4, v2
; %bb.55:
	v_cmp_lt_f32_e32 vcc_lo, v5, v3
	s_and_b32 s1, vcc_lo, exec_lo
; %bb.56:
	s_or_b32 exec_lo, exec_lo, s3
	s_delay_alu instid0(SALU_CYCLE_1)
	s_or_not1_b32 s1, s1, exec_lo
.LBB25_57:
	s_or_b32 exec_lo, exec_lo, s0
	s_delay_alu instid0(SALU_CYCLE_1)
	s_and_b32 s1, s1, exec_lo
.LBB25_58:
	s_or_b32 exec_lo, exec_lo, s2
	s_xor_b32 s0, s1, -1
                                        ; implicit-def: $vgpr6_vgpr7
	s_delay_alu instid0(SALU_CYCLE_1) | instskip(NEXT) | instid1(SALU_CYCLE_1)
	s_and_saveexec_b32 s2, s0
	s_xor_b32 s0, exec_lo, s2
; %bb.59:
	ds_load_b64 v[6:7], v8 offset:8
                                        ; implicit-def: $vgpr12
; %bb.60:
	s_or_saveexec_b32 s0, s0
	s_wait_dscnt 0x0
	v_mov_b64_e32 v[8:9], v[4:5]
	s_xor_b32 exec_lo, exec_lo, s0
; %bb.61:
	ds_load_b64 v[8:9], v12 offset:72
	v_mov_b64_e32 v[6:7], v[2:3]
; %bb.62:
	s_or_b32 exec_lo, exec_lo, s0
	v_add_nc_u32_e32 v12, 1, v11
	v_add_nc_u32_e32 v10, v10, v23
	s_mov_b32 s2, 0
	s_mov_b32 s3, exec_lo
	s_delay_alu instid0(VALU_DEP_1) | instskip(NEXT) | instid1(VALU_DEP_1)
	v_dual_cndmask_b32 v15, v11, v12, s1 :: v_dual_add_nc_u32 v13, 1, v10
	v_cndmask_b32_e64 v14, v13, v10, s1
	s_delay_alu instid0(VALU_DEP_2)
	v_cmpx_lt_i32_e64 v15, v22
	s_cbranch_execz .LBB25_68
; %bb.63:
	s_delay_alu instid0(VALU_DEP_2) | instskip(SKIP_4) | instid1(SALU_CYCLE_1)
	v_cmp_lt_i32_e32 vcc_lo, v14, v21
	s_wait_dscnt 0x0
	v_cmp_nlt_f32_e64 s0, v8, v6
	s_mov_b32 s2, -1
	s_and_b32 s4, vcc_lo, s0
	s_and_saveexec_b32 s0, s4
	s_cbranch_execz .LBB25_67
; %bb.64:
	s_mov_b32 s2, 0
	s_mov_b32 s4, exec_lo
	v_cmpx_eq_f32_e32 v8, v6
; %bb.65:
	v_cmp_lt_f32_e32 vcc_lo, v9, v7
	s_and_b32 s2, vcc_lo, exec_lo
; %bb.66:
	s_or_b32 exec_lo, exec_lo, s4
	s_delay_alu instid0(SALU_CYCLE_1)
	s_or_not1_b32 s2, s2, exec_lo
.LBB25_67:
	s_or_b32 exec_lo, exec_lo, s0
	s_delay_alu instid0(SALU_CYCLE_1)
	s_and_b32 s2, s2, exec_lo
.LBB25_68:
	s_or_b32 exec_lo, exec_lo, s3
	s_xor_b32 s0, s2, -1
                                        ; implicit-def: $vgpr10_vgpr11
	s_delay_alu instid0(SALU_CYCLE_1) | instskip(NEXT) | instid1(SALU_CYCLE_1)
	s_and_saveexec_b32 s3, s0
	s_xor_b32 s0, exec_lo, s3
; %bb.69:
	v_lshl_add_u32 v10, v14, 3, v18
	ds_load_b64 v[10:11], v10 offset:8
; %bb.70:
	s_or_saveexec_b32 s0, s0
	s_wait_dscnt 0x0
	v_mov_b64_e32 v[12:13], v[8:9]
	s_xor_b32 exec_lo, exec_lo, s0
; %bb.71:
	v_lshl_add_u32 v10, v15, 3, v18
	ds_load_b64 v[12:13], v10 offset:8
	v_mov_b64_e32 v[10:11], v[6:7]
; %bb.72:
	s_or_b32 exec_lo, exec_lo, s0
	v_add_nc_u32_e32 v16, 1, v15
	s_mov_b32 s0, exec_lo
	s_delay_alu instid0(VALU_DEP_1) | instskip(NEXT) | instid1(VALU_DEP_1)
	v_dual_cndmask_b32 v23, v15, v16, s2 :: v_dual_add_nc_u32 v15, 1, v14
	v_cmpx_ge_i32_e64 v23, v22
	s_xor_b32 s0, exec_lo, s0
	s_delay_alu instid0(SALU_CYCLE_1) | instskip(NEXT) | instid1(VALU_DEP_2)
	s_or_saveexec_b32 s4, s0
	v_cndmask_b32_e64 v24, v15, v14, s2
	s_mov_b32 s3, 0
	s_xor_b32 exec_lo, exec_lo, s4
	s_cbranch_execz .LBB25_78
; %bb.73:
	s_delay_alu instid0(VALU_DEP_1) | instskip(SKIP_4) | instid1(SALU_CYCLE_1)
	v_cmp_lt_i32_e32 vcc_lo, v24, v21
	s_wait_dscnt 0x0
	v_cmp_nlt_f32_e64 s0, v12, v10
	s_mov_b32 s3, -1
	s_and_b32 s5, vcc_lo, s0
	s_and_saveexec_b32 s0, s5
	s_cbranch_execz .LBB25_77
; %bb.74:
	s_mov_b32 s3, 0
	s_mov_b32 s5, exec_lo
	v_cmpx_eq_f32_e32 v12, v10
; %bb.75:
	v_cmp_lt_f32_e32 vcc_lo, v13, v11
	s_and_b32 s3, vcc_lo, exec_lo
; %bb.76:
	s_or_b32 exec_lo, exec_lo, s5
	s_delay_alu instid0(SALU_CYCLE_1)
	s_or_not1_b32 s3, s3, exec_lo
.LBB25_77:
	s_or_b32 exec_lo, exec_lo, s0
	s_delay_alu instid0(SALU_CYCLE_1)
	s_and_b32 s3, s3, exec_lo
.LBB25_78:
	s_or_b32 exec_lo, exec_lo, s4
	s_xor_b32 s0, s3, -1
                                        ; implicit-def: $vgpr14_vgpr15
	s_delay_alu instid0(SALU_CYCLE_1) | instskip(NEXT) | instid1(SALU_CYCLE_1)
	s_and_saveexec_b32 s4, s0
	s_xor_b32 s0, exec_lo, s4
; %bb.79:
	v_lshl_add_u32 v14, v24, 3, v18
	ds_load_b64 v[14:15], v14 offset:8
; %bb.80:
	s_or_saveexec_b32 s0, s0
	s_wait_dscnt 0x0
	v_mov_b64_e32 v[16:17], v[12:13]
	s_xor_b32 exec_lo, exec_lo, s0
; %bb.81:
	v_lshl_add_u32 v14, v23, 3, v18
	ds_load_b64 v[16:17], v14 offset:8
	v_mov_b64_e32 v[14:15], v[10:11]
; %bb.82:
	s_or_b32 exec_lo, exec_lo, s0
	v_add_nc_u32_e32 v25, 1, v23
	s_mov_b32 s0, 0
	s_mov_b32 s4, exec_lo
	s_delay_alu instid0(VALU_DEP_1) | instskip(NEXT) | instid1(VALU_DEP_1)
	v_cndmask_b32_e64 v23, v23, v25, s3
	v_cmpx_lt_i32_e64 v23, v22
	s_cbranch_execz .LBB25_88
; %bb.83:
	v_add_nc_u32_e32 v22, 1, v24
	s_wait_dscnt 0x0
	v_cmp_nlt_f32_e32 vcc_lo, v16, v14
	s_mov_b32 s5, -1
	s_delay_alu instid0(VALU_DEP_2) | instskip(NEXT) | instid1(VALU_DEP_1)
	v_cndmask_b32_e64 v22, v22, v24, s3
	v_cmp_lt_i32_e64 s0, v22, v21
	s_and_b32 s6, s0, vcc_lo
	s_delay_alu instid0(SALU_CYCLE_1)
	s_and_saveexec_b32 s0, s6
	s_cbranch_execz .LBB25_87
; %bb.84:
	s_mov_b32 s5, 0
	s_mov_b32 s6, exec_lo
	v_cmpx_eq_f32_e32 v16, v14
; %bb.85:
	v_cmp_lt_f32_e32 vcc_lo, v17, v15
	s_and_b32 s5, vcc_lo, exec_lo
; %bb.86:
	s_or_b32 exec_lo, exec_lo, s6
	s_delay_alu instid0(SALU_CYCLE_1)
	s_or_not1_b32 s5, s5, exec_lo
.LBB25_87:
	s_or_b32 exec_lo, exec_lo, s0
	s_delay_alu instid0(SALU_CYCLE_1)
	s_and_b32 s0, s5, exec_lo
.LBB25_88:
	s_or_b32 exec_lo, exec_lo, s4
	v_and_b32_e32 v23, 0x60, v19
	v_dual_cndmask_b32 v12, v10, v12, s3 :: v_dual_cndmask_b32 v13, v11, v13, s3
	v_dual_cndmask_b32 v8, v6, v8, s2 :: v_dual_cndmask_b32 v9, v7, v9, s2
	v_and_b32_e32 v6, 28, v19
	s_wait_dscnt 0x0
	v_dual_cndmask_b32 v15, v15, v17, s0 :: v_dual_bitop2_b32 v21, 16, v23 bitop3:0x54
	v_cndmask_b32_e64 v14, v14, v16, s0
	s_mov_b32 s0, exec_lo
	s_delay_alu instid0(VALU_DEP_2) | instskip(SKIP_3) | instid1(VALU_DEP_4)
	v_dual_cndmask_b32 v4, v2, v4, s1 :: v_dual_sub_nc_u32 v7, v21, v23
	v_cndmask_b32_e64 v5, v3, v5, s1
	v_sub_nc_u32_e64 v10, v6, 16 clamp
	v_lshl_add_u32 v2, v23, 3, v18
	v_min_i32_e32 v3, v6, v7
	; wave barrier
	ds_store_2addr_b64 v20, v[4:5], v[8:9] offset1:1
	ds_store_2addr_b64 v20, v[12:13], v[14:15] offset0:2 offset1:3
	; wave barrier
	v_cmpx_lt_i32_e64 v10, v3
	s_cbranch_execz .LBB25_96
; %bb.89:
	v_lshl_add_u32 v4, v6, 3, v2
	s_mov_b32 s1, 0
                                        ; implicit-def: $sgpr2
	s_branch .LBB25_92
.LBB25_90:                              ;   in Loop: Header=BB25_92 Depth=1
	s_or_b32 exec_lo, exec_lo, s5
	s_delay_alu instid0(SALU_CYCLE_1) | instskip(SKIP_1) | instid1(SALU_CYCLE_1)
	s_and_not1_b32 s2, s2, exec_lo
	s_and_b32 s4, s4, exec_lo
	s_or_b32 s2, s2, s4
.LBB25_91:                              ;   in Loop: Header=BB25_92 Depth=1
	s_or_b32 exec_lo, exec_lo, s3
	v_dual_add_nc_u32 v7, 1, v5 :: v_dual_cndmask_b32 v3, v3, v5, s2
	s_delay_alu instid0(VALU_DEP_1) | instskip(NEXT) | instid1(VALU_DEP_1)
	v_cndmask_b32_e64 v10, v7, v10, s2
	v_cmp_ge_i32_e32 vcc_lo, v10, v3
	s_or_b32 s1, vcc_lo, s1
	s_delay_alu instid0(SALU_CYCLE_1)
	s_and_not1_b32 exec_lo, exec_lo, s1
	s_cbranch_execz .LBB25_95
.LBB25_92:                              ; =>This Inner Loop Header: Depth=1
	v_sub_nc_u32_e32 v5, v3, v10
	s_or_b32 s2, s2, exec_lo
	s_mov_b32 s3, exec_lo
	s_delay_alu instid0(VALU_DEP_1) | instskip(NEXT) | instid1(VALU_DEP_1)
	v_lshrrev_b32_e32 v5, 1, v5
	v_add_nc_u32_e32 v5, v5, v10
	s_delay_alu instid0(VALU_DEP_1) | instskip(SKIP_1) | instid1(VALU_DEP_2)
	v_not_b32_e32 v8, v5
	v_lshl_add_u32 v7, v5, 3, v2
	v_lshl_add_u32 v8, v8, 3, v4
	ds_load_b32 v9, v7
	ds_load_b32 v11, v8 offset:128
	s_wait_dscnt 0x0
	v_cmpx_nlt_f32_e32 v11, v9
	s_cbranch_execz .LBB25_91
; %bb.93:                               ;   in Loop: Header=BB25_92 Depth=1
	s_mov_b32 s4, 0
	s_mov_b32 s5, exec_lo
	v_cmpx_eq_f32_e32 v11, v9
	s_cbranch_execz .LBB25_90
; %bb.94:                               ;   in Loop: Header=BB25_92 Depth=1
	ds_load_b32 v8, v8 offset:132
	ds_load_b32 v7, v7 offset:4
	s_wait_dscnt 0x0
	v_cmp_lt_f32_e32 vcc_lo, v8, v7
	s_and_b32 s4, vcc_lo, exec_lo
	s_branch .LBB25_90
.LBB25_95:
	s_or_b32 exec_lo, exec_lo, s1
.LBB25_96:
	s_delay_alu instid0(SALU_CYCLE_1) | instskip(SKIP_3) | instid1(VALU_DEP_2)
	s_or_b32 exec_lo, exec_lo, s0
	v_dual_add_nc_u32 v3, v23, v6 :: v_dual_add_nc_u32 v6, v21, v6
	v_lshl_add_u32 v8, v10, 3, v2
	s_mov_b32 s0, exec_lo
	v_dual_add_nc_u32 v22, 32, v23 :: v_dual_sub_nc_u32 v3, v3, v10
	s_delay_alu instid0(VALU_DEP_3) | instskip(NEXT) | instid1(VALU_DEP_2)
	v_sub_nc_u32_e32 v11, v6, v10
	v_lshl_add_u32 v12, v3, 3, v18
	ds_load_b64 v[2:3], v8
	ds_load_b64 v[4:5], v12 offset:128
	v_cmpx_le_i32_e64 v22, v11
	s_xor_b32 s0, exec_lo, s0
	s_delay_alu instid0(SALU_CYCLE_1)
	s_or_saveexec_b32 s2, s0
	s_mov_b32 s1, 0
	s_xor_b32 exec_lo, exec_lo, s2
	s_cbranch_execz .LBB25_102
; %bb.97:
	v_cmp_gt_i32_e32 vcc_lo, 16, v10
	s_wait_dscnt 0x0
	v_cmp_nlt_f32_e64 s0, v4, v2
	s_mov_b32 s1, -1
	s_and_b32 s3, vcc_lo, s0
	s_delay_alu instid0(SALU_CYCLE_1)
	s_and_saveexec_b32 s0, s3
	s_cbranch_execz .LBB25_101
; %bb.98:
	s_mov_b32 s1, 0
	s_mov_b32 s3, exec_lo
	v_cmpx_eq_f32_e32 v4, v2
; %bb.99:
	v_cmp_lt_f32_e32 vcc_lo, v5, v3
	s_and_b32 s1, vcc_lo, exec_lo
; %bb.100:
	s_or_b32 exec_lo, exec_lo, s3
	s_delay_alu instid0(SALU_CYCLE_1)
	s_or_not1_b32 s1, s1, exec_lo
.LBB25_101:
	s_or_b32 exec_lo, exec_lo, s0
	s_delay_alu instid0(SALU_CYCLE_1)
	s_and_b32 s1, s1, exec_lo
.LBB25_102:
	s_or_b32 exec_lo, exec_lo, s2
	s_xor_b32 s0, s1, -1
                                        ; implicit-def: $vgpr6_vgpr7
	s_delay_alu instid0(SALU_CYCLE_1) | instskip(NEXT) | instid1(SALU_CYCLE_1)
	s_and_saveexec_b32 s2, s0
	s_xor_b32 s0, exec_lo, s2
; %bb.103:
	ds_load_b64 v[6:7], v8 offset:8
                                        ; implicit-def: $vgpr12
; %bb.104:
	s_or_saveexec_b32 s0, s0
	s_wait_dscnt 0x0
	v_mov_b64_e32 v[8:9], v[4:5]
	s_xor_b32 exec_lo, exec_lo, s0
; %bb.105:
	ds_load_b64 v[8:9], v12 offset:136
	v_mov_b64_e32 v[6:7], v[2:3]
; %bb.106:
	s_or_b32 exec_lo, exec_lo, s0
	v_add_nc_u32_e32 v12, 1, v11
	v_add_nc_u32_e32 v10, v10, v23
	s_mov_b32 s2, 0
	s_mov_b32 s3, exec_lo
	s_delay_alu instid0(VALU_DEP_1) | instskip(NEXT) | instid1(VALU_DEP_1)
	v_dual_cndmask_b32 v15, v11, v12, s1 :: v_dual_add_nc_u32 v13, 1, v10
	v_cndmask_b32_e64 v14, v13, v10, s1
	s_delay_alu instid0(VALU_DEP_2)
	v_cmpx_lt_i32_e64 v15, v22
	s_cbranch_execz .LBB25_112
; %bb.107:
	s_delay_alu instid0(VALU_DEP_2) | instskip(SKIP_4) | instid1(SALU_CYCLE_1)
	v_cmp_lt_i32_e32 vcc_lo, v14, v21
	s_wait_dscnt 0x0
	v_cmp_nlt_f32_e64 s0, v8, v6
	s_mov_b32 s2, -1
	s_and_b32 s4, vcc_lo, s0
	s_and_saveexec_b32 s0, s4
	s_cbranch_execz .LBB25_111
; %bb.108:
	s_mov_b32 s2, 0
	s_mov_b32 s4, exec_lo
	v_cmpx_eq_f32_e32 v8, v6
; %bb.109:
	v_cmp_lt_f32_e32 vcc_lo, v9, v7
	s_and_b32 s2, vcc_lo, exec_lo
; %bb.110:
	s_or_b32 exec_lo, exec_lo, s4
	s_delay_alu instid0(SALU_CYCLE_1)
	s_or_not1_b32 s2, s2, exec_lo
.LBB25_111:
	s_or_b32 exec_lo, exec_lo, s0
	s_delay_alu instid0(SALU_CYCLE_1)
	s_and_b32 s2, s2, exec_lo
.LBB25_112:
	s_or_b32 exec_lo, exec_lo, s3
	s_xor_b32 s0, s2, -1
                                        ; implicit-def: $vgpr10_vgpr11
	s_delay_alu instid0(SALU_CYCLE_1) | instskip(NEXT) | instid1(SALU_CYCLE_1)
	s_and_saveexec_b32 s3, s0
	s_xor_b32 s0, exec_lo, s3
; %bb.113:
	v_lshl_add_u32 v10, v14, 3, v18
	ds_load_b64 v[10:11], v10 offset:8
; %bb.114:
	s_or_saveexec_b32 s0, s0
	s_wait_dscnt 0x0
	v_mov_b64_e32 v[12:13], v[8:9]
	s_xor_b32 exec_lo, exec_lo, s0
; %bb.115:
	v_lshl_add_u32 v10, v15, 3, v18
	ds_load_b64 v[12:13], v10 offset:8
	v_mov_b64_e32 v[10:11], v[6:7]
; %bb.116:
	s_or_b32 exec_lo, exec_lo, s0
	v_add_nc_u32_e32 v16, 1, v15
	s_mov_b32 s0, exec_lo
	s_delay_alu instid0(VALU_DEP_1) | instskip(NEXT) | instid1(VALU_DEP_1)
	v_dual_cndmask_b32 v23, v15, v16, s2 :: v_dual_add_nc_u32 v15, 1, v14
	v_cmpx_ge_i32_e64 v23, v22
	s_xor_b32 s0, exec_lo, s0
	s_delay_alu instid0(SALU_CYCLE_1) | instskip(NEXT) | instid1(VALU_DEP_2)
	s_or_saveexec_b32 s4, s0
	v_cndmask_b32_e64 v24, v15, v14, s2
	s_mov_b32 s3, 0
	s_xor_b32 exec_lo, exec_lo, s4
	s_cbranch_execz .LBB25_122
; %bb.117:
	s_delay_alu instid0(VALU_DEP_1) | instskip(SKIP_4) | instid1(SALU_CYCLE_1)
	v_cmp_lt_i32_e32 vcc_lo, v24, v21
	s_wait_dscnt 0x0
	v_cmp_nlt_f32_e64 s0, v12, v10
	s_mov_b32 s3, -1
	s_and_b32 s5, vcc_lo, s0
	s_and_saveexec_b32 s0, s5
	s_cbranch_execz .LBB25_121
; %bb.118:
	s_mov_b32 s3, 0
	s_mov_b32 s5, exec_lo
	v_cmpx_eq_f32_e32 v12, v10
; %bb.119:
	v_cmp_lt_f32_e32 vcc_lo, v13, v11
	s_and_b32 s3, vcc_lo, exec_lo
; %bb.120:
	s_or_b32 exec_lo, exec_lo, s5
	s_delay_alu instid0(SALU_CYCLE_1)
	s_or_not1_b32 s3, s3, exec_lo
.LBB25_121:
	s_or_b32 exec_lo, exec_lo, s0
	s_delay_alu instid0(SALU_CYCLE_1)
	s_and_b32 s3, s3, exec_lo
.LBB25_122:
	s_or_b32 exec_lo, exec_lo, s4
	s_xor_b32 s0, s3, -1
                                        ; implicit-def: $vgpr14_vgpr15
	s_delay_alu instid0(SALU_CYCLE_1) | instskip(NEXT) | instid1(SALU_CYCLE_1)
	s_and_saveexec_b32 s4, s0
	s_xor_b32 s0, exec_lo, s4
; %bb.123:
	v_lshl_add_u32 v14, v24, 3, v18
	ds_load_b64 v[14:15], v14 offset:8
; %bb.124:
	s_or_saveexec_b32 s0, s0
	s_wait_dscnt 0x0
	v_mov_b64_e32 v[16:17], v[12:13]
	s_xor_b32 exec_lo, exec_lo, s0
; %bb.125:
	v_lshl_add_u32 v14, v23, 3, v18
	ds_load_b64 v[16:17], v14 offset:8
	v_mov_b64_e32 v[14:15], v[10:11]
; %bb.126:
	s_or_b32 exec_lo, exec_lo, s0
	v_add_nc_u32_e32 v25, 1, v23
	s_mov_b32 s0, 0
	s_mov_b32 s4, exec_lo
	s_delay_alu instid0(VALU_DEP_1) | instskip(NEXT) | instid1(VALU_DEP_1)
	v_cndmask_b32_e64 v23, v23, v25, s3
	v_cmpx_lt_i32_e64 v23, v22
	s_cbranch_execz .LBB25_132
; %bb.127:
	v_add_nc_u32_e32 v22, 1, v24
	s_wait_dscnt 0x0
	v_cmp_nlt_f32_e32 vcc_lo, v16, v14
	s_mov_b32 s5, -1
	s_delay_alu instid0(VALU_DEP_2) | instskip(NEXT) | instid1(VALU_DEP_1)
	v_cndmask_b32_e64 v22, v22, v24, s3
	v_cmp_lt_i32_e64 s0, v22, v21
	s_and_b32 s6, s0, vcc_lo
	s_delay_alu instid0(SALU_CYCLE_1)
	s_and_saveexec_b32 s0, s6
	s_cbranch_execz .LBB25_131
; %bb.128:
	s_mov_b32 s5, 0
	s_mov_b32 s6, exec_lo
	v_cmpx_eq_f32_e32 v16, v14
; %bb.129:
	v_cmp_lt_f32_e32 vcc_lo, v17, v15
	s_and_b32 s5, vcc_lo, exec_lo
; %bb.130:
	s_or_b32 exec_lo, exec_lo, s6
	s_delay_alu instid0(SALU_CYCLE_1)
	s_or_not1_b32 s5, s5, exec_lo
.LBB25_131:
	s_or_b32 exec_lo, exec_lo, s0
	s_delay_alu instid0(SALU_CYCLE_1)
	s_and_b32 s0, s5, exec_lo
.LBB25_132:
	s_or_b32 exec_lo, exec_lo, s4
	v_dual_cndmask_b32 v12, v10, v12, s3 :: v_dual_bitop2_b32 v23, 64, v19 bitop3:0x40
	v_dual_cndmask_b32 v9, v7, v9, s2 :: v_dual_cndmask_b32 v8, v6, v8, s2
	v_dual_cndmask_b32 v4, v2, v4, s1 :: v_dual_bitop2_b32 v6, 60, v19 bitop3:0x40
	s_delay_alu instid0(VALU_DEP_3) | instskip(SKIP_1) | instid1(VALU_DEP_3)
	v_dual_cndmask_b32 v13, v11, v13, s3 :: v_dual_bitop2_b32 v21, 32, v23 bitop3:0x54
	v_lshl_add_u32 v2, v23, 3, v18
	v_sub_nc_u32_e64 v10, v6, 32 clamp
	s_delay_alu instid0(VALU_DEP_3) | instskip(SKIP_3) | instid1(VALU_DEP_2)
	v_dual_cndmask_b32 v5, v3, v5, s1 :: v_dual_sub_nc_u32 v7, v21, v23
	s_wait_dscnt 0x0
	v_dual_cndmask_b32 v15, v15, v17, s0 :: v_dual_cndmask_b32 v14, v14, v16, s0
	s_mov_b32 s0, exec_lo
	v_min_i32_e32 v3, v6, v7
	; wave barrier
	ds_store_2addr_b64 v20, v[4:5], v[8:9] offset1:1
	ds_store_2addr_b64 v20, v[12:13], v[14:15] offset0:2 offset1:3
	; wave barrier
	v_cmpx_lt_i32_e64 v10, v3
	s_cbranch_execz .LBB25_140
; %bb.133:
	v_lshl_add_u32 v4, v6, 3, v2
	s_mov_b32 s1, 0
                                        ; implicit-def: $sgpr2
	s_branch .LBB25_136
.LBB25_134:                             ;   in Loop: Header=BB25_136 Depth=1
	s_or_b32 exec_lo, exec_lo, s5
	s_delay_alu instid0(SALU_CYCLE_1) | instskip(SKIP_1) | instid1(SALU_CYCLE_1)
	s_and_not1_b32 s2, s2, exec_lo
	s_and_b32 s4, s4, exec_lo
	s_or_b32 s2, s2, s4
.LBB25_135:                             ;   in Loop: Header=BB25_136 Depth=1
	s_or_b32 exec_lo, exec_lo, s3
	v_dual_add_nc_u32 v7, 1, v5 :: v_dual_cndmask_b32 v3, v3, v5, s2
	s_delay_alu instid0(VALU_DEP_1) | instskip(NEXT) | instid1(VALU_DEP_1)
	v_cndmask_b32_e64 v10, v7, v10, s2
	v_cmp_ge_i32_e32 vcc_lo, v10, v3
	s_or_b32 s1, vcc_lo, s1
	s_delay_alu instid0(SALU_CYCLE_1)
	s_and_not1_b32 exec_lo, exec_lo, s1
	s_cbranch_execz .LBB25_139
.LBB25_136:                             ; =>This Inner Loop Header: Depth=1
	v_sub_nc_u32_e32 v5, v3, v10
	s_or_b32 s2, s2, exec_lo
	s_mov_b32 s3, exec_lo
	s_delay_alu instid0(VALU_DEP_1) | instskip(NEXT) | instid1(VALU_DEP_1)
	v_lshrrev_b32_e32 v5, 1, v5
	v_add_nc_u32_e32 v5, v5, v10
	s_delay_alu instid0(VALU_DEP_1) | instskip(SKIP_1) | instid1(VALU_DEP_2)
	v_not_b32_e32 v8, v5
	v_lshl_add_u32 v7, v5, 3, v2
	v_lshl_add_u32 v8, v8, 3, v4
	ds_load_b32 v9, v7
	ds_load_b32 v11, v8 offset:256
	s_wait_dscnt 0x0
	v_cmpx_nlt_f32_e32 v11, v9
	s_cbranch_execz .LBB25_135
; %bb.137:                              ;   in Loop: Header=BB25_136 Depth=1
	s_mov_b32 s4, 0
	s_mov_b32 s5, exec_lo
	v_cmpx_eq_f32_e32 v11, v9
	s_cbranch_execz .LBB25_134
; %bb.138:                              ;   in Loop: Header=BB25_136 Depth=1
	ds_load_b32 v8, v8 offset:260
	ds_load_b32 v7, v7 offset:4
	s_wait_dscnt 0x0
	v_cmp_lt_f32_e32 vcc_lo, v8, v7
	s_and_b32 s4, vcc_lo, exec_lo
	s_branch .LBB25_134
.LBB25_139:
	s_or_b32 exec_lo, exec_lo, s1
.LBB25_140:
	s_delay_alu instid0(SALU_CYCLE_1) | instskip(SKIP_3) | instid1(VALU_DEP_2)
	s_or_b32 exec_lo, exec_lo, s0
	v_dual_add_nc_u32 v3, v23, v6 :: v_dual_add_nc_u32 v6, v21, v6
	v_lshl_add_u32 v8, v10, 3, v2
	s_mov_b32 s0, exec_lo
	v_dual_add_nc_u32 v22, 64, v23 :: v_dual_sub_nc_u32 v3, v3, v10
	s_delay_alu instid0(VALU_DEP_3) | instskip(NEXT) | instid1(VALU_DEP_2)
	v_sub_nc_u32_e32 v11, v6, v10
	v_lshl_add_u32 v12, v3, 3, v18
	ds_load_b64 v[2:3], v8
	ds_load_b64 v[4:5], v12 offset:256
	v_cmpx_le_i32_e64 v22, v11
	s_xor_b32 s0, exec_lo, s0
	s_delay_alu instid0(SALU_CYCLE_1)
	s_or_saveexec_b32 s2, s0
	s_mov_b32 s1, 0
	s_xor_b32 exec_lo, exec_lo, s2
	s_cbranch_execz .LBB25_146
; %bb.141:
	v_cmp_gt_i32_e32 vcc_lo, 32, v10
	s_wait_dscnt 0x0
	v_cmp_nlt_f32_e64 s0, v4, v2
	s_mov_b32 s1, -1
	s_and_b32 s3, vcc_lo, s0
	s_delay_alu instid0(SALU_CYCLE_1)
	s_and_saveexec_b32 s0, s3
	s_cbranch_execz .LBB25_145
; %bb.142:
	s_mov_b32 s1, 0
	s_mov_b32 s3, exec_lo
	v_cmpx_eq_f32_e32 v4, v2
; %bb.143:
	v_cmp_lt_f32_e32 vcc_lo, v5, v3
	s_and_b32 s1, vcc_lo, exec_lo
; %bb.144:
	s_or_b32 exec_lo, exec_lo, s3
	s_delay_alu instid0(SALU_CYCLE_1)
	s_or_not1_b32 s1, s1, exec_lo
.LBB25_145:
	s_or_b32 exec_lo, exec_lo, s0
	s_delay_alu instid0(SALU_CYCLE_1)
	s_and_b32 s1, s1, exec_lo
.LBB25_146:
	s_or_b32 exec_lo, exec_lo, s2
	s_xor_b32 s0, s1, -1
                                        ; implicit-def: $vgpr6_vgpr7
	s_delay_alu instid0(SALU_CYCLE_1) | instskip(NEXT) | instid1(SALU_CYCLE_1)
	s_and_saveexec_b32 s2, s0
	s_xor_b32 s0, exec_lo, s2
; %bb.147:
	ds_load_b64 v[6:7], v8 offset:8
                                        ; implicit-def: $vgpr12
; %bb.148:
	s_or_saveexec_b32 s0, s0
	s_wait_dscnt 0x0
	v_mov_b64_e32 v[8:9], v[4:5]
	s_xor_b32 exec_lo, exec_lo, s0
; %bb.149:
	ds_load_b64 v[8:9], v12 offset:264
	v_mov_b64_e32 v[6:7], v[2:3]
; %bb.150:
	s_or_b32 exec_lo, exec_lo, s0
	v_add_nc_u32_e32 v12, 1, v11
	v_add_nc_u32_e32 v10, v10, v23
	s_mov_b32 s2, 0
	s_mov_b32 s3, exec_lo
	s_delay_alu instid0(VALU_DEP_1) | instskip(NEXT) | instid1(VALU_DEP_1)
	v_dual_cndmask_b32 v15, v11, v12, s1 :: v_dual_add_nc_u32 v13, 1, v10
	v_cndmask_b32_e64 v14, v13, v10, s1
	s_delay_alu instid0(VALU_DEP_2)
	v_cmpx_lt_i32_e64 v15, v22
	s_cbranch_execz .LBB25_156
; %bb.151:
	s_delay_alu instid0(VALU_DEP_2) | instskip(SKIP_4) | instid1(SALU_CYCLE_1)
	v_cmp_lt_i32_e32 vcc_lo, v14, v21
	s_wait_dscnt 0x0
	v_cmp_nlt_f32_e64 s0, v8, v6
	s_mov_b32 s2, -1
	s_and_b32 s4, vcc_lo, s0
	s_and_saveexec_b32 s0, s4
	s_cbranch_execz .LBB25_155
; %bb.152:
	s_mov_b32 s2, 0
	s_mov_b32 s4, exec_lo
	v_cmpx_eq_f32_e32 v8, v6
; %bb.153:
	v_cmp_lt_f32_e32 vcc_lo, v9, v7
	s_and_b32 s2, vcc_lo, exec_lo
; %bb.154:
	s_or_b32 exec_lo, exec_lo, s4
	s_delay_alu instid0(SALU_CYCLE_1)
	s_or_not1_b32 s2, s2, exec_lo
.LBB25_155:
	s_or_b32 exec_lo, exec_lo, s0
	s_delay_alu instid0(SALU_CYCLE_1)
	s_and_b32 s2, s2, exec_lo
.LBB25_156:
	s_or_b32 exec_lo, exec_lo, s3
	s_xor_b32 s0, s2, -1
                                        ; implicit-def: $vgpr10_vgpr11
	s_delay_alu instid0(SALU_CYCLE_1) | instskip(NEXT) | instid1(SALU_CYCLE_1)
	s_and_saveexec_b32 s3, s0
	s_xor_b32 s0, exec_lo, s3
; %bb.157:
	v_lshl_add_u32 v10, v14, 3, v18
	ds_load_b64 v[10:11], v10 offset:8
; %bb.158:
	s_or_saveexec_b32 s0, s0
	s_wait_dscnt 0x0
	v_mov_b64_e32 v[12:13], v[8:9]
	s_xor_b32 exec_lo, exec_lo, s0
; %bb.159:
	v_lshl_add_u32 v10, v15, 3, v18
	ds_load_b64 v[12:13], v10 offset:8
	v_mov_b64_e32 v[10:11], v[6:7]
; %bb.160:
	s_or_b32 exec_lo, exec_lo, s0
	v_add_nc_u32_e32 v16, 1, v15
	s_mov_b32 s0, exec_lo
	s_delay_alu instid0(VALU_DEP_1) | instskip(NEXT) | instid1(VALU_DEP_1)
	v_dual_cndmask_b32 v23, v15, v16, s2 :: v_dual_add_nc_u32 v15, 1, v14
	v_cmpx_ge_i32_e64 v23, v22
	s_xor_b32 s0, exec_lo, s0
	s_delay_alu instid0(SALU_CYCLE_1) | instskip(NEXT) | instid1(VALU_DEP_2)
	s_or_saveexec_b32 s4, s0
	v_cndmask_b32_e64 v24, v15, v14, s2
	s_mov_b32 s3, 0
	s_xor_b32 exec_lo, exec_lo, s4
	s_cbranch_execz .LBB25_166
; %bb.161:
	s_delay_alu instid0(VALU_DEP_1) | instskip(SKIP_4) | instid1(SALU_CYCLE_1)
	v_cmp_lt_i32_e32 vcc_lo, v24, v21
	s_wait_dscnt 0x0
	v_cmp_nlt_f32_e64 s0, v12, v10
	s_mov_b32 s3, -1
	s_and_b32 s5, vcc_lo, s0
	s_and_saveexec_b32 s0, s5
	s_cbranch_execz .LBB25_165
; %bb.162:
	s_mov_b32 s3, 0
	s_mov_b32 s5, exec_lo
	v_cmpx_eq_f32_e32 v12, v10
; %bb.163:
	v_cmp_lt_f32_e32 vcc_lo, v13, v11
	s_and_b32 s3, vcc_lo, exec_lo
; %bb.164:
	s_or_b32 exec_lo, exec_lo, s5
	s_delay_alu instid0(SALU_CYCLE_1)
	s_or_not1_b32 s3, s3, exec_lo
.LBB25_165:
	s_or_b32 exec_lo, exec_lo, s0
	s_delay_alu instid0(SALU_CYCLE_1)
	s_and_b32 s3, s3, exec_lo
.LBB25_166:
	s_or_b32 exec_lo, exec_lo, s4
	s_xor_b32 s0, s3, -1
                                        ; implicit-def: $vgpr14_vgpr15
	s_delay_alu instid0(SALU_CYCLE_1) | instskip(NEXT) | instid1(SALU_CYCLE_1)
	s_and_saveexec_b32 s4, s0
	s_xor_b32 s0, exec_lo, s4
; %bb.167:
	v_lshl_add_u32 v14, v24, 3, v18
	ds_load_b64 v[14:15], v14 offset:8
; %bb.168:
	s_or_saveexec_b32 s0, s0
	s_wait_dscnt 0x0
	v_mov_b64_e32 v[16:17], v[12:13]
	s_xor_b32 exec_lo, exec_lo, s0
; %bb.169:
	v_lshl_add_u32 v14, v23, 3, v18
	ds_load_b64 v[16:17], v14 offset:8
	v_mov_b64_e32 v[14:15], v[10:11]
; %bb.170:
	s_or_b32 exec_lo, exec_lo, s0
	v_add_nc_u32_e32 v25, 1, v23
	s_mov_b32 s0, 0
	s_mov_b32 s4, exec_lo
	s_delay_alu instid0(VALU_DEP_1) | instskip(NEXT) | instid1(VALU_DEP_1)
	v_cndmask_b32_e64 v23, v23, v25, s3
	v_cmpx_lt_i32_e64 v23, v22
	s_cbranch_execz .LBB25_176
; %bb.171:
	v_add_nc_u32_e32 v22, 1, v24
	s_wait_dscnt 0x0
	v_cmp_nlt_f32_e32 vcc_lo, v16, v14
	s_mov_b32 s5, -1
	s_delay_alu instid0(VALU_DEP_2) | instskip(NEXT) | instid1(VALU_DEP_1)
	v_cndmask_b32_e64 v22, v22, v24, s3
	v_cmp_lt_i32_e64 s0, v22, v21
	s_and_b32 s6, s0, vcc_lo
	s_delay_alu instid0(SALU_CYCLE_1)
	s_and_saveexec_b32 s0, s6
	s_cbranch_execz .LBB25_175
; %bb.172:
	s_mov_b32 s5, 0
	s_mov_b32 s6, exec_lo
	v_cmpx_eq_f32_e32 v16, v14
; %bb.173:
	v_cmp_lt_f32_e32 vcc_lo, v17, v15
	s_and_b32 s5, vcc_lo, exec_lo
; %bb.174:
	s_or_b32 exec_lo, exec_lo, s6
	s_delay_alu instid0(SALU_CYCLE_1)
	s_or_not1_b32 s5, s5, exec_lo
.LBB25_175:
	s_or_b32 exec_lo, exec_lo, s0
	s_delay_alu instid0(SALU_CYCLE_1)
	s_and_b32 s0, s5, exec_lo
.LBB25_176:
	s_or_b32 exec_lo, exec_lo, s4
	v_dual_cndmask_b32 v12, v10, v12, s3 :: v_dual_cndmask_b32 v13, v11, v13, s3
	v_dual_cndmask_b32 v7, v7, v9, s2 :: v_dual_cndmask_b32 v6, v6, v8, s2
	;; [unrolled: 1-line block ×3, first 2 shown]
	v_sub_nc_u32_e64 v10, v19, 64 clamp
	s_wait_dscnt 0x0
	v_dual_cndmask_b32 v9, v15, v17, s0 :: v_dual_min_i32 v2, 64, v19
	v_cndmask_b32_e64 v8, v14, v16, s0
	s_mov_b32 s0, exec_lo
	; wave barrier
	ds_store_2addr_b64 v20, v[4:5], v[6:7] offset1:1
	ds_store_2addr_b64 v20, v[12:13], v[8:9] offset0:2 offset1:3
	; wave barrier
	v_cmpx_lt_u32_e64 v10, v2
	s_cbranch_execz .LBB25_184
; %bb.177:
	s_mov_b32 s1, 0
                                        ; implicit-def: $sgpr2
	s_branch .LBB25_180
.LBB25_178:                             ;   in Loop: Header=BB25_180 Depth=1
	s_or_b32 exec_lo, exec_lo, s5
	s_delay_alu instid0(SALU_CYCLE_1) | instskip(SKIP_1) | instid1(SALU_CYCLE_1)
	s_and_not1_b32 s2, s2, exec_lo
	s_and_b32 s4, s4, exec_lo
	s_or_b32 s2, s2, s4
.LBB25_179:                             ;   in Loop: Header=BB25_180 Depth=1
	s_or_b32 exec_lo, exec_lo, s3
	v_dual_add_nc_u32 v4, 1, v3 :: v_dual_cndmask_b32 v2, v2, v3, s2
	s_delay_alu instid0(VALU_DEP_1) | instskip(NEXT) | instid1(VALU_DEP_1)
	v_cndmask_b32_e64 v10, v4, v10, s2
	v_cmp_ge_i32_e32 vcc_lo, v10, v2
	s_or_b32 s1, vcc_lo, s1
	s_delay_alu instid0(SALU_CYCLE_1)
	s_and_not1_b32 exec_lo, exec_lo, s1
	s_cbranch_execz .LBB25_183
.LBB25_180:                             ; =>This Inner Loop Header: Depth=1
	v_sub_nc_u32_e32 v3, v2, v10
	s_or_b32 s2, s2, exec_lo
	s_mov_b32 s3, exec_lo
	s_delay_alu instid0(VALU_DEP_1) | instskip(NEXT) | instid1(VALU_DEP_1)
	v_lshrrev_b32_e32 v3, 1, v3
	v_add_nc_u32_e32 v3, v3, v10
	s_delay_alu instid0(VALU_DEP_1) | instskip(SKIP_1) | instid1(VALU_DEP_2)
	v_not_b32_e32 v5, v3
	v_lshl_add_u32 v4, v3, 3, v18
	v_lshl_add_u32 v5, v5, 3, v20
	ds_load_b32 v6, v4
	ds_load_b32 v7, v5 offset:512
	s_wait_dscnt 0x0
	v_cmpx_nlt_f32_e32 v7, v6
	s_cbranch_execz .LBB25_179
; %bb.181:                              ;   in Loop: Header=BB25_180 Depth=1
	s_mov_b32 s4, 0
	s_mov_b32 s5, exec_lo
	v_cmpx_eq_f32_e32 v7, v6
	s_cbranch_execz .LBB25_178
; %bb.182:                              ;   in Loop: Header=BB25_180 Depth=1
	ds_load_b32 v5, v5 offset:516
	ds_load_b32 v4, v4 offset:4
	s_wait_dscnt 0x0
	v_cmp_lt_f32_e32 vcc_lo, v5, v4
	s_and_b32 s4, vcc_lo, exec_lo
	s_branch .LBB25_178
.LBB25_183:
	s_or_b32 exec_lo, exec_lo, s1
.LBB25_184:
	s_delay_alu instid0(SALU_CYCLE_1) | instskip(SKIP_4) | instid1(VALU_DEP_2)
	s_or_b32 exec_lo, exec_lo, s0
	v_sub_nc_u32_e32 v6, v19, v10
	v_lshl_add_u32 v8, v10, 3, v18
	s_mov_b32 s1, 0
	s_mov_b32 s2, exec_lo
	v_lshl_add_u32 v12, v6, 3, v18
	v_add_nc_u32_e32 v11, 64, v6
	ds_load_b64 v[2:3], v8
	ds_load_b64 v[4:5], v12 offset:512
	v_cmpx_gt_i32_e32 0x80, v11
	s_cbranch_execz .LBB25_190
; %bb.185:
	v_cmp_gt_i32_e32 vcc_lo, 64, v10
	s_wait_dscnt 0x0
	v_cmp_nlt_f32_e64 s0, v4, v2
	s_mov_b32 s1, -1
	s_and_b32 s3, vcc_lo, s0
	s_delay_alu instid0(SALU_CYCLE_1)
	s_and_saveexec_b32 s0, s3
	s_cbranch_execz .LBB25_189
; %bb.186:
	s_mov_b32 s1, 0
	s_mov_b32 s3, exec_lo
	v_cmpx_eq_f32_e32 v4, v2
; %bb.187:
	v_cmp_lt_f32_e32 vcc_lo, v5, v3
	s_and_b32 s1, vcc_lo, exec_lo
; %bb.188:
	s_or_b32 exec_lo, exec_lo, s3
	s_delay_alu instid0(SALU_CYCLE_1)
	s_or_not1_b32 s1, s1, exec_lo
.LBB25_189:
	s_or_b32 exec_lo, exec_lo, s0
	s_delay_alu instid0(SALU_CYCLE_1)
	s_and_b32 s1, s1, exec_lo
.LBB25_190:
	s_or_b32 exec_lo, exec_lo, s2
	s_xor_b32 s0, s1, -1
                                        ; implicit-def: $vgpr6_vgpr7
	s_delay_alu instid0(SALU_CYCLE_1) | instskip(NEXT) | instid1(SALU_CYCLE_1)
	s_and_saveexec_b32 s2, s0
	s_xor_b32 s0, exec_lo, s2
; %bb.191:
	ds_load_b64 v[6:7], v8 offset:8
                                        ; implicit-def: $vgpr12
; %bb.192:
	s_or_saveexec_b32 s0, s0
	s_wait_dscnt 0x0
	v_mov_b64_e32 v[8:9], v[4:5]
	s_xor_b32 exec_lo, exec_lo, s0
; %bb.193:
	ds_load_b64 v[8:9], v12 offset:520
	v_mov_b64_e32 v[6:7], v[2:3]
; %bb.194:
	s_or_b32 exec_lo, exec_lo, s0
	v_dual_add_nc_u32 v12, 1, v11 :: v_dual_add_nc_u32 v13, 1, v10
	s_mov_b32 s2, 0
	s_mov_b32 s3, exec_lo
	s_delay_alu instid0(VALU_DEP_1) | instskip(NEXT) | instid1(VALU_DEP_1)
	v_dual_cndmask_b32 v14, v11, v12, s1 :: v_dual_cndmask_b32 v15, v13, v10, s1
	v_cmpx_gt_i32_e32 0x80, v14
	s_cbranch_execz .LBB25_200
; %bb.195:
	s_delay_alu instid0(VALU_DEP_2) | instskip(SKIP_4) | instid1(SALU_CYCLE_1)
	v_cmp_gt_i32_e32 vcc_lo, 64, v15
	s_wait_dscnt 0x0
	v_cmp_nlt_f32_e64 s0, v8, v6
	s_mov_b32 s2, -1
	s_and_b32 s4, vcc_lo, s0
	s_and_saveexec_b32 s0, s4
	s_cbranch_execz .LBB25_199
; %bb.196:
	s_mov_b32 s2, 0
	s_mov_b32 s4, exec_lo
	v_cmpx_eq_f32_e32 v8, v6
; %bb.197:
	v_cmp_lt_f32_e32 vcc_lo, v9, v7
	s_and_b32 s2, vcc_lo, exec_lo
; %bb.198:
	s_or_b32 exec_lo, exec_lo, s4
	s_delay_alu instid0(SALU_CYCLE_1)
	s_or_not1_b32 s2, s2, exec_lo
.LBB25_199:
	s_or_b32 exec_lo, exec_lo, s0
	s_delay_alu instid0(SALU_CYCLE_1)
	s_and_b32 s2, s2, exec_lo
.LBB25_200:
	s_or_b32 exec_lo, exec_lo, s3
	s_xor_b32 s0, s2, -1
                                        ; implicit-def: $vgpr10_vgpr11
	s_delay_alu instid0(SALU_CYCLE_1) | instskip(NEXT) | instid1(SALU_CYCLE_1)
	s_and_saveexec_b32 s3, s0
	s_xor_b32 s0, exec_lo, s3
; %bb.201:
	v_lshl_add_u32 v10, v15, 3, v18
	ds_load_b64 v[10:11], v10 offset:8
; %bb.202:
	s_or_saveexec_b32 s0, s0
	s_wait_dscnt 0x0
	v_mov_b64_e32 v[12:13], v[8:9]
	s_xor_b32 exec_lo, exec_lo, s0
; %bb.203:
	v_lshl_add_u32 v10, v14, 3, v18
	ds_load_b64 v[12:13], v10 offset:8
	v_mov_b64_e32 v[10:11], v[6:7]
; %bb.204:
	s_or_b32 exec_lo, exec_lo, s0
	v_dual_add_nc_u32 v16, 1, v14 :: v_dual_add_nc_u32 v17, 1, v15
	s_mov_b32 s3, 0
	s_mov_b32 s4, exec_lo
	s_delay_alu instid0(VALU_DEP_1) | instskip(NEXT) | instid1(VALU_DEP_1)
	v_dual_cndmask_b32 v20, v14, v16, s2 :: v_dual_cndmask_b32 v19, v17, v15, s2
	v_cmpx_gt_i32_e32 0x80, v20
	s_cbranch_execz .LBB25_210
; %bb.205:
	s_delay_alu instid0(VALU_DEP_2) | instskip(SKIP_4) | instid1(SALU_CYCLE_1)
	v_cmp_gt_i32_e32 vcc_lo, 64, v19
	s_wait_dscnt 0x0
	v_cmp_nlt_f32_e64 s0, v12, v10
	s_mov_b32 s3, -1
	s_and_b32 s5, vcc_lo, s0
	s_and_saveexec_b32 s0, s5
	s_cbranch_execz .LBB25_209
; %bb.206:
	s_mov_b32 s3, 0
	s_mov_b32 s5, exec_lo
	v_cmpx_eq_f32_e32 v12, v10
; %bb.207:
	v_cmp_lt_f32_e32 vcc_lo, v13, v11
	s_and_b32 s3, vcc_lo, exec_lo
; %bb.208:
	s_or_b32 exec_lo, exec_lo, s5
	s_delay_alu instid0(SALU_CYCLE_1)
	s_or_not1_b32 s3, s3, exec_lo
.LBB25_209:
	s_or_b32 exec_lo, exec_lo, s0
	s_delay_alu instid0(SALU_CYCLE_1)
	s_and_b32 s3, s3, exec_lo
.LBB25_210:
	s_or_b32 exec_lo, exec_lo, s4
	s_xor_b32 s0, s3, -1
                                        ; implicit-def: $vgpr14_vgpr15
	s_delay_alu instid0(SALU_CYCLE_1) | instskip(NEXT) | instid1(SALU_CYCLE_1)
	s_and_saveexec_b32 s4, s0
	s_xor_b32 s0, exec_lo, s4
; %bb.211:
	v_lshl_add_u32 v14, v19, 3, v18
                                        ; implicit-def: $vgpr18
	ds_load_b64 v[14:15], v14 offset:8
; %bb.212:
	s_or_saveexec_b32 s0, s0
	s_wait_dscnt 0x0
	v_mov_b64_e32 v[16:17], v[12:13]
	s_xor_b32 exec_lo, exec_lo, s0
; %bb.213:
	v_lshl_add_u32 v14, v20, 3, v18
	ds_load_b64 v[16:17], v14 offset:8
	v_mov_b64_e32 v[14:15], v[10:11]
; %bb.214:
	s_or_b32 exec_lo, exec_lo, s0
	v_add_nc_u32_e32 v18, 1, v20
	s_mov_b32 s0, 0
	s_mov_b32 s4, exec_lo
	s_delay_alu instid0(VALU_DEP_1) | instskip(NEXT) | instid1(VALU_DEP_1)
	v_cndmask_b32_e64 v18, v20, v18, s3
	v_cmpx_gt_i32_e32 0x80, v18
	s_cbranch_execz .LBB25_220
; %bb.215:
	v_add_nc_u32_e32 v18, 1, v19
	s_wait_dscnt 0x0
	v_cmp_nlt_f32_e32 vcc_lo, v16, v14
	s_mov_b32 s5, -1
	s_delay_alu instid0(VALU_DEP_2) | instskip(NEXT) | instid1(VALU_DEP_1)
	v_cndmask_b32_e64 v18, v18, v19, s3
	v_cmp_gt_i32_e64 s0, 64, v18
	s_and_b32 s6, s0, vcc_lo
	s_delay_alu instid0(SALU_CYCLE_1)
	s_and_saveexec_b32 s0, s6
	s_cbranch_execz .LBB25_219
; %bb.216:
	s_mov_b32 s5, 0
	s_mov_b32 s6, exec_lo
	v_cmpx_eq_f32_e32 v16, v14
; %bb.217:
	v_cmp_lt_f32_e32 vcc_lo, v17, v15
	s_and_b32 s5, vcc_lo, exec_lo
; %bb.218:
	s_or_b32 exec_lo, exec_lo, s6
	s_delay_alu instid0(SALU_CYCLE_1)
	s_or_not1_b32 s5, s5, exec_lo
.LBB25_219:
	s_or_b32 exec_lo, exec_lo, s0
	s_delay_alu instid0(SALU_CYCLE_1)
	s_and_b32 s0, s5, exec_lo
.LBB25_220:
	s_or_b32 exec_lo, exec_lo, s4
	v_dual_cndmask_b32 v7, v7, v9, s2 :: v_dual_cndmask_b32 v6, v6, v8, s2
	v_dual_cndmask_b32 v5, v3, v5, s1 :: v_dual_cndmask_b32 v4, v2, v4, s1
	;; [unrolled: 1-line block ×3, first 2 shown]
	s_wait_dscnt 0x0
	v_dual_cndmask_b32 v13, v15, v17, s0 :: v_dual_cndmask_b32 v12, v14, v16, s0
	s_clause 0x1
	global_store_b128 v[0:1], v[4:7], off
	global_store_b128 v[0:1], v[10:13], off offset:16
	s_endpgm
	.section	.rodata,"a",@progbits
	.p2align	6, 0x0
	.amdhsa_kernel _Z14sort_keys_fullILj256ELj32ELj4ELb0EN10test_utils16custom_test_typeIfEENS0_4lessEEvPT3_T4_
		.amdhsa_group_segment_fixed_size 8256
		.amdhsa_private_segment_fixed_size 0
		.amdhsa_kernarg_size 12
		.amdhsa_user_sgpr_count 2
		.amdhsa_user_sgpr_dispatch_ptr 0
		.amdhsa_user_sgpr_queue_ptr 0
		.amdhsa_user_sgpr_kernarg_segment_ptr 1
		.amdhsa_user_sgpr_dispatch_id 0
		.amdhsa_user_sgpr_kernarg_preload_length 0
		.amdhsa_user_sgpr_kernarg_preload_offset 0
		.amdhsa_user_sgpr_private_segment_size 0
		.amdhsa_wavefront_size32 1
		.amdhsa_uses_dynamic_stack 0
		.amdhsa_enable_private_segment 0
		.amdhsa_system_sgpr_workgroup_id_x 1
		.amdhsa_system_sgpr_workgroup_id_y 0
		.amdhsa_system_sgpr_workgroup_id_z 0
		.amdhsa_system_sgpr_workgroup_info 0
		.amdhsa_system_vgpr_workitem_id 0
		.amdhsa_next_free_vgpr 26
		.amdhsa_next_free_sgpr 8
		.amdhsa_named_barrier_count 0
		.amdhsa_reserve_vcc 1
		.amdhsa_float_round_mode_32 0
		.amdhsa_float_round_mode_16_64 0
		.amdhsa_float_denorm_mode_32 3
		.amdhsa_float_denorm_mode_16_64 3
		.amdhsa_fp16_overflow 0
		.amdhsa_memory_ordered 1
		.amdhsa_forward_progress 1
		.amdhsa_inst_pref_size 49
		.amdhsa_round_robin_scheduling 0
		.amdhsa_exception_fp_ieee_invalid_op 0
		.amdhsa_exception_fp_denorm_src 0
		.amdhsa_exception_fp_ieee_div_zero 0
		.amdhsa_exception_fp_ieee_overflow 0
		.amdhsa_exception_fp_ieee_underflow 0
		.amdhsa_exception_fp_ieee_inexact 0
		.amdhsa_exception_int_div_zero 0
	.end_amdhsa_kernel
	.section	.text._Z14sort_keys_fullILj256ELj32ELj4ELb0EN10test_utils16custom_test_typeIfEENS0_4lessEEvPT3_T4_,"axG",@progbits,_Z14sort_keys_fullILj256ELj32ELj4ELb0EN10test_utils16custom_test_typeIfEENS0_4lessEEvPT3_T4_,comdat
.Lfunc_end25:
	.size	_Z14sort_keys_fullILj256ELj32ELj4ELb0EN10test_utils16custom_test_typeIfEENS0_4lessEEvPT3_T4_, .Lfunc_end25-_Z14sort_keys_fullILj256ELj32ELj4ELb0EN10test_utils16custom_test_typeIfEENS0_4lessEEvPT3_T4_
                                        ; -- End function
	.set _Z14sort_keys_fullILj256ELj32ELj4ELb0EN10test_utils16custom_test_typeIfEENS0_4lessEEvPT3_T4_.num_vgpr, 26
	.set _Z14sort_keys_fullILj256ELj32ELj4ELb0EN10test_utils16custom_test_typeIfEENS0_4lessEEvPT3_T4_.num_agpr, 0
	.set _Z14sort_keys_fullILj256ELj32ELj4ELb0EN10test_utils16custom_test_typeIfEENS0_4lessEEvPT3_T4_.numbered_sgpr, 8
	.set _Z14sort_keys_fullILj256ELj32ELj4ELb0EN10test_utils16custom_test_typeIfEENS0_4lessEEvPT3_T4_.num_named_barrier, 0
	.set _Z14sort_keys_fullILj256ELj32ELj4ELb0EN10test_utils16custom_test_typeIfEENS0_4lessEEvPT3_T4_.private_seg_size, 0
	.set _Z14sort_keys_fullILj256ELj32ELj4ELb0EN10test_utils16custom_test_typeIfEENS0_4lessEEvPT3_T4_.uses_vcc, 1
	.set _Z14sort_keys_fullILj256ELj32ELj4ELb0EN10test_utils16custom_test_typeIfEENS0_4lessEEvPT3_T4_.uses_flat_scratch, 0
	.set _Z14sort_keys_fullILj256ELj32ELj4ELb0EN10test_utils16custom_test_typeIfEENS0_4lessEEvPT3_T4_.has_dyn_sized_stack, 0
	.set _Z14sort_keys_fullILj256ELj32ELj4ELb0EN10test_utils16custom_test_typeIfEENS0_4lessEEvPT3_T4_.has_recursion, 0
	.set _Z14sort_keys_fullILj256ELj32ELj4ELb0EN10test_utils16custom_test_typeIfEENS0_4lessEEvPT3_T4_.has_indirect_call, 0
	.section	.AMDGPU.csdata,"",@progbits
; Kernel info:
; codeLenInByte = 6236
; TotalNumSgprs: 10
; NumVgprs: 26
; ScratchSize: 0
; MemoryBound: 0
; FloatMode: 240
; IeeeMode: 1
; LDSByteSize: 8256 bytes/workgroup (compile time only)
; SGPRBlocks: 0
; VGPRBlocks: 1
; NumSGPRsForWavesPerEU: 10
; NumVGPRsForWavesPerEU: 26
; NamedBarCnt: 0
; Occupancy: 16
; WaveLimiterHint : 0
; COMPUTE_PGM_RSRC2:SCRATCH_EN: 0
; COMPUTE_PGM_RSRC2:USER_SGPR: 2
; COMPUTE_PGM_RSRC2:TRAP_HANDLER: 0
; COMPUTE_PGM_RSRC2:TGID_X_EN: 1
; COMPUTE_PGM_RSRC2:TGID_Y_EN: 0
; COMPUTE_PGM_RSRC2:TGID_Z_EN: 0
; COMPUTE_PGM_RSRC2:TIDIG_COMP_CNT: 0
	.section	.text._Z14sort_keys_fullILj256ELj32ELj2ELb0EN10test_utils16custom_test_typeIfEENS0_4lessEEvPT3_T4_,"axG",@progbits,_Z14sort_keys_fullILj256ELj32ELj2ELb0EN10test_utils16custom_test_typeIfEENS0_4lessEEvPT3_T4_,comdat
	.protected	_Z14sort_keys_fullILj256ELj32ELj2ELb0EN10test_utils16custom_test_typeIfEENS0_4lessEEvPT3_T4_ ; -- Begin function _Z14sort_keys_fullILj256ELj32ELj2ELb0EN10test_utils16custom_test_typeIfEENS0_4lessEEvPT3_T4_
	.globl	_Z14sort_keys_fullILj256ELj32ELj2ELb0EN10test_utils16custom_test_typeIfEENS0_4lessEEvPT3_T4_
	.p2align	8
	.type	_Z14sort_keys_fullILj256ELj32ELj2ELb0EN10test_utils16custom_test_typeIfEENS0_4lessEEvPT3_T4_,@function
_Z14sort_keys_fullILj256ELj32ELj2ELb0EN10test_utils16custom_test_typeIfEENS0_4lessEEvPT3_T4_: ; @_Z14sort_keys_fullILj256ELj32ELj2ELb0EN10test_utils16custom_test_typeIfEENS0_4lessEEvPT3_T4_
; %bb.0:
	s_load_b64 s[0:1], s[0:1], 0x0
	s_bfe_u32 s2, ttmp6, 0x4000c
	s_and_b32 s3, ttmp6, 15
	s_add_co_i32 s2, s2, 1
	s_getreg_b32 s4, hwreg(HW_REG_IB_STS2, 6, 4)
	s_mul_i32 s2, ttmp9, s2
	s_mov_b32 s5, 0
	s_add_co_i32 s3, s3, s2
	s_cmp_eq_u32 s4, 0
	v_mbcnt_lo_u32_b32 v1, -1, 0
	s_cselect_b32 s2, ttmp9, s3
	v_mov_b32_e32 v3, 0
	s_lshl_b32 s4, s2, 9
	v_lshlrev_b32_e32 v2, 4, v0
	s_lshl_b64 s[2:3], s[4:5], 3
	v_dual_lshlrev_b32 v10, 1, v1 :: v_dual_lshrrev_b32 v4, 5, v0
	s_delay_alu instid0(VALU_DEP_1)
	v_dual_mov_b32 v15, v3 :: v_dual_bitop2_b32 v13, 60, v10 bitop3:0x40
	s_wait_kmcnt 0x0
	s_add_nc_u64 s[2:3], s[0:1], s[2:3]
	global_load_b128 v[16:19], v0, s[2:3] scale_offset
	s_wait_xcnt 0x0
	v_lshlrev_b32_e32 v0, 4, v1
	v_or_b32_e32 v14, 2, v13
	v_and_b32_e32 v6, 2, v10
	; wave barrier
	s_delay_alu instid0(VALU_DEP_3) | instskip(NEXT) | instid1(VALU_DEP_3)
	v_mad_u32_u24 v11, 0x208, v4, v0
	v_sub_nc_u32_e32 v1, v14, v13
	s_wait_loadcnt 0x0
	v_cmp_neq_f32_e32 vcc_lo, v18, v16
	v_cmp_nlt_f32_e64 s0, v19, v17
	v_cmp_nlt_f32_e64 s1, v18, v16
	s_or_b32 s0, vcc_lo, s0
	s_delay_alu instid0(SALU_CYCLE_1) | instskip(SKIP_4) | instid1(VALU_DEP_4)
	s_and_b32 vcc_lo, s1, s0
	v_dual_cndmask_b32 v8, v18, v16 :: v_dual_lshlrev_b32 v5, 3, v13
	v_min_i32_e32 v0, v6, v1
	v_dual_cndmask_b32 v9, v19, v17 :: v_dual_cndmask_b32 v16, v16, v18
	v_cndmask_b32_e32 v17, v17, v19, vcc_lo
	v_mad_u32_u24 v5, 0x208, v4, v5
	s_mov_b32 s0, exec_lo
	ds_store_2addr_b64 v11, v[8:9], v[16:17] offset1:1
	; wave barrier
	v_cmpx_lt_i32_e32 0, v0
	s_cbranch_execz .LBB26_8
; %bb.1:
	v_lshl_add_u32 v1, v6, 3, v5
	v_mov_b32_e32 v15, v3
                                        ; implicit-def: $sgpr1
	s_branch .LBB26_4
.LBB26_2:                               ;   in Loop: Header=BB26_4 Depth=1
	s_or_b32 exec_lo, exec_lo, s7
	s_delay_alu instid0(SALU_CYCLE_1) | instskip(SKIP_1) | instid1(SALU_CYCLE_1)
	s_and_not1_b32 s1, s1, exec_lo
	s_and_b32 s6, s6, exec_lo
	s_or_b32 s1, s1, s6
.LBB26_3:                               ;   in Loop: Header=BB26_4 Depth=1
	s_or_b32 exec_lo, exec_lo, s4
	v_dual_add_nc_u32 v8, 1, v7 :: v_dual_cndmask_b32 v0, v0, v7, s1
	s_delay_alu instid0(VALU_DEP_1) | instskip(NEXT) | instid1(VALU_DEP_1)
	v_cndmask_b32_e64 v15, v8, v15, s1
	v_cmp_ge_i32_e32 vcc_lo, v15, v0
	s_or_b32 s5, vcc_lo, s5
	s_delay_alu instid0(SALU_CYCLE_1)
	s_and_not1_b32 exec_lo, exec_lo, s5
	s_cbranch_execz .LBB26_7
.LBB26_4:                               ; =>This Inner Loop Header: Depth=1
	s_delay_alu instid0(VALU_DEP_1) | instskip(SKIP_2) | instid1(VALU_DEP_1)
	v_sub_nc_u32_e32 v7, v0, v15
	s_or_b32 s1, s1, exec_lo
	s_mov_b32 s4, exec_lo
	v_lshrrev_b32_e32 v7, 1, v7
	s_delay_alu instid0(VALU_DEP_1) | instskip(NEXT) | instid1(VALU_DEP_1)
	v_add_nc_u32_e32 v7, v7, v15
	v_not_b32_e32 v9, v7
	v_lshl_add_u32 v8, v7, 3, v5
	s_delay_alu instid0(VALU_DEP_2)
	v_lshl_add_u32 v9, v9, 3, v1
	ds_load_b32 v12, v8
	ds_load_b32 v16, v9 offset:16
	s_wait_dscnt 0x0
	v_cmpx_nlt_f32_e32 v16, v12
	s_cbranch_execz .LBB26_3
; %bb.5:                                ;   in Loop: Header=BB26_4 Depth=1
	s_mov_b32 s6, 0
	s_mov_b32 s7, exec_lo
	v_cmpx_eq_f32_e32 v16, v12
	s_cbranch_execz .LBB26_2
; %bb.6:                                ;   in Loop: Header=BB26_4 Depth=1
	ds_load_b32 v9, v9 offset:20
	ds_load_b32 v8, v8 offset:4
	s_wait_dscnt 0x0
	v_cmp_lt_f32_e32 vcc_lo, v9, v8
	s_and_b32 s6, vcc_lo, exec_lo
	s_branch .LBB26_2
.LBB26_7:
	s_or_b32 exec_lo, exec_lo, s5
.LBB26_8:
	s_delay_alu instid0(SALU_CYCLE_1) | instskip(SKIP_4) | instid1(VALU_DEP_3)
	s_or_b32 exec_lo, exec_lo, s0
	v_add_nc_u64_e32 v[0:1], s[2:3], v[2:3]
	v_dual_add_nc_u32 v2, v13, v6 :: v_dual_add_nc_u32 v6, v14, v6
	v_mul_u32_u24_e32 v12, 0x208, v4
	v_lshl_add_u32 v8, v15, 3, v5
	v_dual_add_nc_u32 v16, 4, v13 :: v_dual_sub_nc_u32 v2, v2, v15
	s_delay_alu instid0(VALU_DEP_4) | instskip(SKIP_1) | instid1(VALU_DEP_2)
	v_sub_nc_u32_e32 v17, v6, v15
	s_mov_b32 s0, exec_lo
	v_lshl_add_u32 v18, v2, 3, v12
	ds_load_b64 v[2:3], v8
	ds_load_b64 v[4:5], v18 offset:16
	v_cmpx_le_i32_e64 v16, v17
	s_xor_b32 s0, exec_lo, s0
	s_delay_alu instid0(SALU_CYCLE_1)
	s_or_saveexec_b32 s2, s0
	s_mov_b32 s1, 0
	s_xor_b32 exec_lo, exec_lo, s2
	s_cbranch_execz .LBB26_14
; %bb.9:
	v_cmp_gt_i32_e32 vcc_lo, 2, v15
	s_wait_dscnt 0x0
	v_cmp_nlt_f32_e64 s0, v4, v2
	s_mov_b32 s1, -1
	s_and_b32 s3, vcc_lo, s0
	s_delay_alu instid0(SALU_CYCLE_1)
	s_and_saveexec_b32 s0, s3
	s_cbranch_execz .LBB26_13
; %bb.10:
	s_mov_b32 s1, 0
	s_mov_b32 s3, exec_lo
	v_cmpx_eq_f32_e32 v4, v2
; %bb.11:
	v_cmp_lt_f32_e32 vcc_lo, v5, v3
	s_and_b32 s1, vcc_lo, exec_lo
; %bb.12:
	s_or_b32 exec_lo, exec_lo, s3
	s_delay_alu instid0(SALU_CYCLE_1)
	s_or_not1_b32 s1, s1, exec_lo
.LBB26_13:
	s_or_b32 exec_lo, exec_lo, s0
	s_delay_alu instid0(SALU_CYCLE_1)
	s_and_b32 s1, s1, exec_lo
.LBB26_14:
	s_or_b32 exec_lo, exec_lo, s2
	s_xor_b32 s0, s1, -1
                                        ; implicit-def: $vgpr6_vgpr7
	s_delay_alu instid0(SALU_CYCLE_1) | instskip(NEXT) | instid1(SALU_CYCLE_1)
	s_and_saveexec_b32 s2, s0
	s_xor_b32 s0, exec_lo, s2
; %bb.15:
	ds_load_b64 v[6:7], v8 offset:8
                                        ; implicit-def: $vgpr18
; %bb.16:
	s_or_saveexec_b32 s0, s0
	s_wait_dscnt 0x0
	v_mov_b64_e32 v[8:9], v[4:5]
	s_xor_b32 exec_lo, exec_lo, s0
; %bb.17:
	ds_load_b64 v[8:9], v18 offset:24
	v_mov_b64_e32 v[6:7], v[2:3]
; %bb.18:
	s_or_b32 exec_lo, exec_lo, s0
	v_add_nc_u32_e32 v18, 1, v17
	s_mov_b32 s0, 0
	s_mov_b32 s2, exec_lo
	s_delay_alu instid0(VALU_DEP_1) | instskip(NEXT) | instid1(VALU_DEP_1)
	v_cndmask_b32_e64 v17, v17, v18, s1
	v_cmpx_lt_i32_e64 v17, v16
	s_cbranch_execz .LBB26_24
; %bb.19:
	v_add_nc_u32_e32 v13, v15, v13
	s_wait_dscnt 0x0
	v_cmp_nlt_f32_e32 vcc_lo, v8, v6
	s_mov_b32 s3, -1
	s_delay_alu instid0(VALU_DEP_2) | instskip(NEXT) | instid1(VALU_DEP_1)
	v_add_nc_u32_e32 v15, 1, v13
	v_cndmask_b32_e64 v13, v15, v13, s1
	s_delay_alu instid0(VALU_DEP_1) | instskip(SKIP_1) | instid1(SALU_CYCLE_1)
	v_cmp_lt_i32_e64 s0, v13, v14
	s_and_b32 s4, s0, vcc_lo
	s_and_saveexec_b32 s0, s4
	s_cbranch_execz .LBB26_23
; %bb.20:
	s_mov_b32 s3, 0
	s_mov_b32 s4, exec_lo
	v_cmpx_eq_f32_e32 v8, v6
; %bb.21:
	v_cmp_lt_f32_e32 vcc_lo, v9, v7
	s_and_b32 s3, vcc_lo, exec_lo
; %bb.22:
	s_or_b32 exec_lo, exec_lo, s4
	s_delay_alu instid0(SALU_CYCLE_1)
	s_or_not1_b32 s3, s3, exec_lo
.LBB26_23:
	s_or_b32 exec_lo, exec_lo, s0
	s_delay_alu instid0(SALU_CYCLE_1)
	s_and_b32 s0, s3, exec_lo
.LBB26_24:
	s_or_b32 exec_lo, exec_lo, s2
	v_dual_cndmask_b32 v4, v2, v4, s1 :: v_dual_bitop2_b32 v14, 56, v10 bitop3:0x40
	s_wait_dscnt 0x0
	v_dual_cndmask_b32 v7, v7, v9, s0 :: v_dual_bitop2_b32 v16, 6, v10 bitop3:0x40
	s_delay_alu instid0(VALU_DEP_2) | instskip(NEXT) | instid1(VALU_DEP_2)
	v_dual_cndmask_b32 v5, v3, v5, s1 :: v_dual_bitop2_b32 v13, 4, v14 bitop3:0x54
	v_sub_nc_u32_e64 v15, v16, 4 clamp
	v_lshl_add_u32 v2, v14, 3, v12
	; wave barrier
	s_delay_alu instid0(VALU_DEP_3) | instskip(SKIP_1) | instid1(VALU_DEP_1)
	v_dual_sub_nc_u32 v17, v13, v14 :: v_dual_cndmask_b32 v6, v6, v8, s0
	s_mov_b32 s0, exec_lo
	v_min_i32_e32 v3, v16, v17
	ds_store_2addr_b64 v11, v[4:5], v[6:7] offset1:1
	; wave barrier
	v_cmpx_lt_i32_e64 v15, v3
	s_cbranch_execz .LBB26_32
; %bb.25:
	v_lshl_add_u32 v4, v16, 3, v2
	s_mov_b32 s1, 0
                                        ; implicit-def: $sgpr2
	s_branch .LBB26_28
.LBB26_26:                              ;   in Loop: Header=BB26_28 Depth=1
	s_or_b32 exec_lo, exec_lo, s5
	s_delay_alu instid0(SALU_CYCLE_1) | instskip(SKIP_1) | instid1(SALU_CYCLE_1)
	s_and_not1_b32 s2, s2, exec_lo
	s_and_b32 s4, s4, exec_lo
	s_or_b32 s2, s2, s4
.LBB26_27:                              ;   in Loop: Header=BB26_28 Depth=1
	s_or_b32 exec_lo, exec_lo, s3
	v_dual_add_nc_u32 v6, 1, v5 :: v_dual_cndmask_b32 v3, v3, v5, s2
	s_delay_alu instid0(VALU_DEP_1) | instskip(NEXT) | instid1(VALU_DEP_1)
	v_cndmask_b32_e64 v15, v6, v15, s2
	v_cmp_ge_i32_e32 vcc_lo, v15, v3
	s_or_b32 s1, vcc_lo, s1
	s_delay_alu instid0(SALU_CYCLE_1)
	s_and_not1_b32 exec_lo, exec_lo, s1
	s_cbranch_execz .LBB26_31
.LBB26_28:                              ; =>This Inner Loop Header: Depth=1
	v_sub_nc_u32_e32 v5, v3, v15
	s_or_b32 s2, s2, exec_lo
	s_mov_b32 s3, exec_lo
	s_delay_alu instid0(VALU_DEP_1) | instskip(NEXT) | instid1(VALU_DEP_1)
	v_lshrrev_b32_e32 v5, 1, v5
	v_add_nc_u32_e32 v5, v5, v15
	s_delay_alu instid0(VALU_DEP_1) | instskip(SKIP_1) | instid1(VALU_DEP_2)
	v_not_b32_e32 v7, v5
	v_lshl_add_u32 v6, v5, 3, v2
	v_lshl_add_u32 v7, v7, 3, v4
	ds_load_b32 v8, v6
	ds_load_b32 v9, v7 offset:32
	s_wait_dscnt 0x0
	v_cmpx_nlt_f32_e32 v9, v8
	s_cbranch_execz .LBB26_27
; %bb.29:                               ;   in Loop: Header=BB26_28 Depth=1
	s_mov_b32 s4, 0
	s_mov_b32 s5, exec_lo
	v_cmpx_eq_f32_e32 v9, v8
	s_cbranch_execz .LBB26_26
; %bb.30:                               ;   in Loop: Header=BB26_28 Depth=1
	ds_load_b32 v7, v7 offset:36
	ds_load_b32 v6, v6 offset:4
	s_wait_dscnt 0x0
	v_cmp_lt_f32_e32 vcc_lo, v7, v6
	s_and_b32 s4, vcc_lo, exec_lo
	s_branch .LBB26_26
.LBB26_31:
	s_or_b32 exec_lo, exec_lo, s1
.LBB26_32:
	s_delay_alu instid0(SALU_CYCLE_1) | instskip(SKIP_3) | instid1(VALU_DEP_2)
	s_or_b32 exec_lo, exec_lo, s0
	v_dual_add_nc_u32 v3, v14, v16 :: v_dual_add_nc_u32 v6, v13, v16
	v_lshl_add_u32 v8, v15, 3, v2
	s_mov_b32 s0, exec_lo
	v_dual_add_nc_u32 v16, 8, v14 :: v_dual_sub_nc_u32 v3, v3, v15
	s_delay_alu instid0(VALU_DEP_3) | instskip(NEXT) | instid1(VALU_DEP_2)
	v_sub_nc_u32_e32 v17, v6, v15
	v_lshl_add_u32 v18, v3, 3, v12
	ds_load_b64 v[2:3], v8
	ds_load_b64 v[4:5], v18 offset:32
	v_cmpx_le_i32_e64 v16, v17
	s_xor_b32 s0, exec_lo, s0
	s_delay_alu instid0(SALU_CYCLE_1)
	s_or_saveexec_b32 s2, s0
	s_mov_b32 s1, 0
	s_xor_b32 exec_lo, exec_lo, s2
	s_cbranch_execz .LBB26_38
; %bb.33:
	v_cmp_gt_i32_e32 vcc_lo, 4, v15
	s_wait_dscnt 0x0
	v_cmp_nlt_f32_e64 s0, v4, v2
	s_mov_b32 s1, -1
	s_and_b32 s3, vcc_lo, s0
	s_delay_alu instid0(SALU_CYCLE_1)
	s_and_saveexec_b32 s0, s3
	s_cbranch_execz .LBB26_37
; %bb.34:
	s_mov_b32 s1, 0
	s_mov_b32 s3, exec_lo
	v_cmpx_eq_f32_e32 v4, v2
; %bb.35:
	v_cmp_lt_f32_e32 vcc_lo, v5, v3
	s_and_b32 s1, vcc_lo, exec_lo
; %bb.36:
	s_or_b32 exec_lo, exec_lo, s3
	s_delay_alu instid0(SALU_CYCLE_1)
	s_or_not1_b32 s1, s1, exec_lo
.LBB26_37:
	s_or_b32 exec_lo, exec_lo, s0
	s_delay_alu instid0(SALU_CYCLE_1)
	s_and_b32 s1, s1, exec_lo
.LBB26_38:
	s_or_b32 exec_lo, exec_lo, s2
	s_xor_b32 s0, s1, -1
                                        ; implicit-def: $vgpr6_vgpr7
	s_delay_alu instid0(SALU_CYCLE_1) | instskip(NEXT) | instid1(SALU_CYCLE_1)
	s_and_saveexec_b32 s2, s0
	s_xor_b32 s0, exec_lo, s2
; %bb.39:
	ds_load_b64 v[6:7], v8 offset:8
                                        ; implicit-def: $vgpr18
; %bb.40:
	s_or_saveexec_b32 s0, s0
	s_wait_dscnt 0x0
	v_mov_b64_e32 v[8:9], v[4:5]
	s_xor_b32 exec_lo, exec_lo, s0
; %bb.41:
	ds_load_b64 v[8:9], v18 offset:40
	v_mov_b64_e32 v[6:7], v[2:3]
; %bb.42:
	s_or_b32 exec_lo, exec_lo, s0
	v_add_nc_u32_e32 v18, 1, v17
	s_mov_b32 s0, 0
	s_mov_b32 s2, exec_lo
	s_delay_alu instid0(VALU_DEP_1) | instskip(NEXT) | instid1(VALU_DEP_1)
	v_cndmask_b32_e64 v17, v17, v18, s1
	v_cmpx_lt_i32_e64 v17, v16
	s_cbranch_execz .LBB26_48
; %bb.43:
	v_add_nc_u32_e32 v14, v15, v14
	s_wait_dscnt 0x0
	v_cmp_nlt_f32_e32 vcc_lo, v8, v6
	s_mov_b32 s3, -1
	s_delay_alu instid0(VALU_DEP_2) | instskip(NEXT) | instid1(VALU_DEP_1)
	v_add_nc_u32_e32 v15, 1, v14
	v_cndmask_b32_e64 v14, v15, v14, s1
	s_delay_alu instid0(VALU_DEP_1) | instskip(SKIP_1) | instid1(SALU_CYCLE_1)
	v_cmp_lt_i32_e64 s0, v14, v13
	s_and_b32 s4, s0, vcc_lo
	s_and_saveexec_b32 s0, s4
	s_cbranch_execz .LBB26_47
; %bb.44:
	s_mov_b32 s3, 0
	s_mov_b32 s4, exec_lo
	v_cmpx_eq_f32_e32 v8, v6
; %bb.45:
	v_cmp_lt_f32_e32 vcc_lo, v9, v7
	s_and_b32 s3, vcc_lo, exec_lo
; %bb.46:
	s_or_b32 exec_lo, exec_lo, s4
	s_delay_alu instid0(SALU_CYCLE_1)
	s_or_not1_b32 s3, s3, exec_lo
.LBB26_47:
	s_or_b32 exec_lo, exec_lo, s0
	s_delay_alu instid0(SALU_CYCLE_1)
	s_and_b32 s0, s3, exec_lo
.LBB26_48:
	s_or_b32 exec_lo, exec_lo, s2
	v_dual_cndmask_b32 v4, v2, v4, s1 :: v_dual_bitop2_b32 v14, 48, v10 bitop3:0x40
	s_wait_dscnt 0x0
	v_dual_cndmask_b32 v7, v7, v9, s0 :: v_dual_bitop2_b32 v16, 14, v10 bitop3:0x40
	s_delay_alu instid0(VALU_DEP_2) | instskip(NEXT) | instid1(VALU_DEP_2)
	v_dual_cndmask_b32 v5, v3, v5, s1 :: v_dual_bitop2_b32 v13, 8, v14 bitop3:0x54
	v_sub_nc_u32_e64 v15, v16, 8 clamp
	v_lshl_add_u32 v2, v14, 3, v12
	; wave barrier
	s_delay_alu instid0(VALU_DEP_3) | instskip(SKIP_1) | instid1(VALU_DEP_1)
	v_dual_sub_nc_u32 v17, v13, v14 :: v_dual_cndmask_b32 v6, v6, v8, s0
	s_mov_b32 s0, exec_lo
	v_min_i32_e32 v3, v16, v17
	ds_store_2addr_b64 v11, v[4:5], v[6:7] offset1:1
	; wave barrier
	v_cmpx_lt_i32_e64 v15, v3
	s_cbranch_execz .LBB26_56
; %bb.49:
	v_lshl_add_u32 v4, v16, 3, v2
	s_mov_b32 s1, 0
                                        ; implicit-def: $sgpr2
	s_branch .LBB26_52
.LBB26_50:                              ;   in Loop: Header=BB26_52 Depth=1
	s_or_b32 exec_lo, exec_lo, s5
	s_delay_alu instid0(SALU_CYCLE_1) | instskip(SKIP_1) | instid1(SALU_CYCLE_1)
	s_and_not1_b32 s2, s2, exec_lo
	s_and_b32 s4, s4, exec_lo
	s_or_b32 s2, s2, s4
.LBB26_51:                              ;   in Loop: Header=BB26_52 Depth=1
	s_or_b32 exec_lo, exec_lo, s3
	v_dual_add_nc_u32 v6, 1, v5 :: v_dual_cndmask_b32 v3, v3, v5, s2
	s_delay_alu instid0(VALU_DEP_1) | instskip(NEXT) | instid1(VALU_DEP_1)
	v_cndmask_b32_e64 v15, v6, v15, s2
	v_cmp_ge_i32_e32 vcc_lo, v15, v3
	s_or_b32 s1, vcc_lo, s1
	s_delay_alu instid0(SALU_CYCLE_1)
	s_and_not1_b32 exec_lo, exec_lo, s1
	s_cbranch_execz .LBB26_55
.LBB26_52:                              ; =>This Inner Loop Header: Depth=1
	v_sub_nc_u32_e32 v5, v3, v15
	s_or_b32 s2, s2, exec_lo
	s_mov_b32 s3, exec_lo
	s_delay_alu instid0(VALU_DEP_1) | instskip(NEXT) | instid1(VALU_DEP_1)
	v_lshrrev_b32_e32 v5, 1, v5
	v_add_nc_u32_e32 v5, v5, v15
	s_delay_alu instid0(VALU_DEP_1) | instskip(SKIP_1) | instid1(VALU_DEP_2)
	v_not_b32_e32 v7, v5
	v_lshl_add_u32 v6, v5, 3, v2
	v_lshl_add_u32 v7, v7, 3, v4
	ds_load_b32 v8, v6
	ds_load_b32 v9, v7 offset:64
	s_wait_dscnt 0x0
	v_cmpx_nlt_f32_e32 v9, v8
	s_cbranch_execz .LBB26_51
; %bb.53:                               ;   in Loop: Header=BB26_52 Depth=1
	s_mov_b32 s4, 0
	s_mov_b32 s5, exec_lo
	v_cmpx_eq_f32_e32 v9, v8
	s_cbranch_execz .LBB26_50
; %bb.54:                               ;   in Loop: Header=BB26_52 Depth=1
	ds_load_b32 v7, v7 offset:68
	ds_load_b32 v6, v6 offset:4
	s_wait_dscnt 0x0
	v_cmp_lt_f32_e32 vcc_lo, v7, v6
	s_and_b32 s4, vcc_lo, exec_lo
	s_branch .LBB26_50
.LBB26_55:
	s_or_b32 exec_lo, exec_lo, s1
.LBB26_56:
	s_delay_alu instid0(SALU_CYCLE_1) | instskip(SKIP_3) | instid1(VALU_DEP_2)
	s_or_b32 exec_lo, exec_lo, s0
	v_dual_add_nc_u32 v3, v14, v16 :: v_dual_add_nc_u32 v6, v13, v16
	v_lshl_add_u32 v8, v15, 3, v2
	s_mov_b32 s0, exec_lo
	v_dual_add_nc_u32 v16, 16, v14 :: v_dual_sub_nc_u32 v3, v3, v15
	s_delay_alu instid0(VALU_DEP_3) | instskip(NEXT) | instid1(VALU_DEP_2)
	v_sub_nc_u32_e32 v17, v6, v15
	v_lshl_add_u32 v18, v3, 3, v12
	ds_load_b64 v[2:3], v8
	ds_load_b64 v[4:5], v18 offset:64
	v_cmpx_le_i32_e64 v16, v17
	s_xor_b32 s0, exec_lo, s0
	s_delay_alu instid0(SALU_CYCLE_1)
	s_or_saveexec_b32 s2, s0
	s_mov_b32 s1, 0
	s_xor_b32 exec_lo, exec_lo, s2
	s_cbranch_execz .LBB26_62
; %bb.57:
	v_cmp_gt_i32_e32 vcc_lo, 8, v15
	s_wait_dscnt 0x0
	v_cmp_nlt_f32_e64 s0, v4, v2
	s_mov_b32 s1, -1
	s_and_b32 s3, vcc_lo, s0
	s_delay_alu instid0(SALU_CYCLE_1)
	s_and_saveexec_b32 s0, s3
	s_cbranch_execz .LBB26_61
; %bb.58:
	s_mov_b32 s1, 0
	s_mov_b32 s3, exec_lo
	v_cmpx_eq_f32_e32 v4, v2
; %bb.59:
	v_cmp_lt_f32_e32 vcc_lo, v5, v3
	s_and_b32 s1, vcc_lo, exec_lo
; %bb.60:
	s_or_b32 exec_lo, exec_lo, s3
	s_delay_alu instid0(SALU_CYCLE_1)
	s_or_not1_b32 s1, s1, exec_lo
.LBB26_61:
	s_or_b32 exec_lo, exec_lo, s0
	s_delay_alu instid0(SALU_CYCLE_1)
	s_and_b32 s1, s1, exec_lo
.LBB26_62:
	s_or_b32 exec_lo, exec_lo, s2
	s_xor_b32 s0, s1, -1
                                        ; implicit-def: $vgpr6_vgpr7
	s_delay_alu instid0(SALU_CYCLE_1) | instskip(NEXT) | instid1(SALU_CYCLE_1)
	s_and_saveexec_b32 s2, s0
	s_xor_b32 s0, exec_lo, s2
; %bb.63:
	ds_load_b64 v[6:7], v8 offset:8
                                        ; implicit-def: $vgpr18
; %bb.64:
	s_or_saveexec_b32 s0, s0
	s_wait_dscnt 0x0
	v_mov_b64_e32 v[8:9], v[4:5]
	s_xor_b32 exec_lo, exec_lo, s0
; %bb.65:
	ds_load_b64 v[8:9], v18 offset:72
	v_mov_b64_e32 v[6:7], v[2:3]
; %bb.66:
	s_or_b32 exec_lo, exec_lo, s0
	v_add_nc_u32_e32 v18, 1, v17
	s_mov_b32 s0, 0
	s_mov_b32 s2, exec_lo
	s_delay_alu instid0(VALU_DEP_1) | instskip(NEXT) | instid1(VALU_DEP_1)
	v_cndmask_b32_e64 v17, v17, v18, s1
	v_cmpx_lt_i32_e64 v17, v16
	s_cbranch_execz .LBB26_72
; %bb.67:
	v_add_nc_u32_e32 v14, v15, v14
	s_wait_dscnt 0x0
	v_cmp_nlt_f32_e32 vcc_lo, v8, v6
	s_mov_b32 s3, -1
	s_delay_alu instid0(VALU_DEP_2) | instskip(NEXT) | instid1(VALU_DEP_1)
	v_add_nc_u32_e32 v15, 1, v14
	v_cndmask_b32_e64 v14, v15, v14, s1
	s_delay_alu instid0(VALU_DEP_1) | instskip(SKIP_1) | instid1(SALU_CYCLE_1)
	v_cmp_lt_i32_e64 s0, v14, v13
	s_and_b32 s4, s0, vcc_lo
	s_and_saveexec_b32 s0, s4
	s_cbranch_execz .LBB26_71
; %bb.68:
	s_mov_b32 s3, 0
	s_mov_b32 s4, exec_lo
	v_cmpx_eq_f32_e32 v8, v6
; %bb.69:
	v_cmp_lt_f32_e32 vcc_lo, v9, v7
	s_and_b32 s3, vcc_lo, exec_lo
; %bb.70:
	s_or_b32 exec_lo, exec_lo, s4
	s_delay_alu instid0(SALU_CYCLE_1)
	s_or_not1_b32 s3, s3, exec_lo
.LBB26_71:
	s_or_b32 exec_lo, exec_lo, s0
	s_delay_alu instid0(SALU_CYCLE_1)
	s_and_b32 s0, s3, exec_lo
.LBB26_72:
	s_or_b32 exec_lo, exec_lo, s2
	v_dual_cndmask_b32 v4, v2, v4, s1 :: v_dual_bitop2_b32 v14, 32, v10 bitop3:0x40
	s_wait_dscnt 0x0
	v_dual_cndmask_b32 v7, v7, v9, s0 :: v_dual_bitop2_b32 v16, 30, v10 bitop3:0x40
	s_delay_alu instid0(VALU_DEP_2) | instskip(NEXT) | instid1(VALU_DEP_2)
	v_dual_cndmask_b32 v5, v3, v5, s1 :: v_dual_bitop2_b32 v13, 16, v14 bitop3:0x54
	v_sub_nc_u32_e64 v15, v16, 16 clamp
	v_lshl_add_u32 v2, v14, 3, v12
	; wave barrier
	s_delay_alu instid0(VALU_DEP_3) | instskip(SKIP_1) | instid1(VALU_DEP_1)
	v_dual_sub_nc_u32 v17, v13, v14 :: v_dual_cndmask_b32 v6, v6, v8, s0
	s_mov_b32 s0, exec_lo
	v_min_i32_e32 v3, v16, v17
	ds_store_2addr_b64 v11, v[4:5], v[6:7] offset1:1
	; wave barrier
	v_cmpx_lt_i32_e64 v15, v3
	s_cbranch_execz .LBB26_80
; %bb.73:
	v_lshl_add_u32 v4, v16, 3, v2
	s_mov_b32 s1, 0
                                        ; implicit-def: $sgpr2
	s_branch .LBB26_76
.LBB26_74:                              ;   in Loop: Header=BB26_76 Depth=1
	s_or_b32 exec_lo, exec_lo, s5
	s_delay_alu instid0(SALU_CYCLE_1) | instskip(SKIP_1) | instid1(SALU_CYCLE_1)
	s_and_not1_b32 s2, s2, exec_lo
	s_and_b32 s4, s4, exec_lo
	s_or_b32 s2, s2, s4
.LBB26_75:                              ;   in Loop: Header=BB26_76 Depth=1
	s_or_b32 exec_lo, exec_lo, s3
	v_dual_add_nc_u32 v6, 1, v5 :: v_dual_cndmask_b32 v3, v3, v5, s2
	s_delay_alu instid0(VALU_DEP_1) | instskip(NEXT) | instid1(VALU_DEP_1)
	v_cndmask_b32_e64 v15, v6, v15, s2
	v_cmp_ge_i32_e32 vcc_lo, v15, v3
	s_or_b32 s1, vcc_lo, s1
	s_delay_alu instid0(SALU_CYCLE_1)
	s_and_not1_b32 exec_lo, exec_lo, s1
	s_cbranch_execz .LBB26_79
.LBB26_76:                              ; =>This Inner Loop Header: Depth=1
	v_sub_nc_u32_e32 v5, v3, v15
	s_or_b32 s2, s2, exec_lo
	s_mov_b32 s3, exec_lo
	s_delay_alu instid0(VALU_DEP_1) | instskip(NEXT) | instid1(VALU_DEP_1)
	v_lshrrev_b32_e32 v5, 1, v5
	v_add_nc_u32_e32 v5, v5, v15
	s_delay_alu instid0(VALU_DEP_1) | instskip(SKIP_1) | instid1(VALU_DEP_2)
	v_not_b32_e32 v7, v5
	v_lshl_add_u32 v6, v5, 3, v2
	v_lshl_add_u32 v7, v7, 3, v4
	ds_load_b32 v8, v6
	ds_load_b32 v9, v7 offset:128
	s_wait_dscnt 0x0
	v_cmpx_nlt_f32_e32 v9, v8
	s_cbranch_execz .LBB26_75
; %bb.77:                               ;   in Loop: Header=BB26_76 Depth=1
	s_mov_b32 s4, 0
	s_mov_b32 s5, exec_lo
	v_cmpx_eq_f32_e32 v9, v8
	s_cbranch_execz .LBB26_74
; %bb.78:                               ;   in Loop: Header=BB26_76 Depth=1
	ds_load_b32 v7, v7 offset:132
	ds_load_b32 v6, v6 offset:4
	s_wait_dscnt 0x0
	v_cmp_lt_f32_e32 vcc_lo, v7, v6
	s_and_b32 s4, vcc_lo, exec_lo
	s_branch .LBB26_74
.LBB26_79:
	s_or_b32 exec_lo, exec_lo, s1
.LBB26_80:
	s_delay_alu instid0(SALU_CYCLE_1) | instskip(SKIP_3) | instid1(VALU_DEP_2)
	s_or_b32 exec_lo, exec_lo, s0
	v_dual_add_nc_u32 v3, v14, v16 :: v_dual_add_nc_u32 v6, v13, v16
	v_lshl_add_u32 v8, v15, 3, v2
	s_mov_b32 s0, exec_lo
	v_dual_add_nc_u32 v16, 32, v14 :: v_dual_sub_nc_u32 v3, v3, v15
	s_delay_alu instid0(VALU_DEP_3) | instskip(NEXT) | instid1(VALU_DEP_2)
	v_sub_nc_u32_e32 v17, v6, v15
	v_lshl_add_u32 v18, v3, 3, v12
	ds_load_b64 v[2:3], v8
	ds_load_b64 v[4:5], v18 offset:128
	v_cmpx_le_i32_e64 v16, v17
	s_xor_b32 s0, exec_lo, s0
	s_delay_alu instid0(SALU_CYCLE_1)
	s_or_saveexec_b32 s2, s0
	s_mov_b32 s1, 0
	s_xor_b32 exec_lo, exec_lo, s2
	s_cbranch_execz .LBB26_86
; %bb.81:
	v_cmp_gt_i32_e32 vcc_lo, 16, v15
	s_wait_dscnt 0x0
	v_cmp_nlt_f32_e64 s0, v4, v2
	s_mov_b32 s1, -1
	s_and_b32 s3, vcc_lo, s0
	s_delay_alu instid0(SALU_CYCLE_1)
	s_and_saveexec_b32 s0, s3
	s_cbranch_execz .LBB26_85
; %bb.82:
	s_mov_b32 s1, 0
	s_mov_b32 s3, exec_lo
	v_cmpx_eq_f32_e32 v4, v2
; %bb.83:
	v_cmp_lt_f32_e32 vcc_lo, v5, v3
	s_and_b32 s1, vcc_lo, exec_lo
; %bb.84:
	s_or_b32 exec_lo, exec_lo, s3
	s_delay_alu instid0(SALU_CYCLE_1)
	s_or_not1_b32 s1, s1, exec_lo
.LBB26_85:
	s_or_b32 exec_lo, exec_lo, s0
	s_delay_alu instid0(SALU_CYCLE_1)
	s_and_b32 s1, s1, exec_lo
.LBB26_86:
	s_or_b32 exec_lo, exec_lo, s2
	s_xor_b32 s0, s1, -1
                                        ; implicit-def: $vgpr6_vgpr7
	s_delay_alu instid0(SALU_CYCLE_1) | instskip(NEXT) | instid1(SALU_CYCLE_1)
	s_and_saveexec_b32 s2, s0
	s_xor_b32 s0, exec_lo, s2
; %bb.87:
	ds_load_b64 v[6:7], v8 offset:8
                                        ; implicit-def: $vgpr18
; %bb.88:
	s_or_saveexec_b32 s0, s0
	s_wait_dscnt 0x0
	v_mov_b64_e32 v[8:9], v[4:5]
	s_xor_b32 exec_lo, exec_lo, s0
; %bb.89:
	ds_load_b64 v[8:9], v18 offset:136
	v_mov_b64_e32 v[6:7], v[2:3]
; %bb.90:
	s_or_b32 exec_lo, exec_lo, s0
	v_add_nc_u32_e32 v18, 1, v17
	s_mov_b32 s0, 0
	s_mov_b32 s2, exec_lo
	s_delay_alu instid0(VALU_DEP_1) | instskip(NEXT) | instid1(VALU_DEP_1)
	v_cndmask_b32_e64 v17, v17, v18, s1
	v_cmpx_lt_i32_e64 v17, v16
	s_cbranch_execz .LBB26_96
; %bb.91:
	v_add_nc_u32_e32 v14, v15, v14
	s_wait_dscnt 0x0
	v_cmp_nlt_f32_e32 vcc_lo, v8, v6
	s_mov_b32 s3, -1
	s_delay_alu instid0(VALU_DEP_2) | instskip(NEXT) | instid1(VALU_DEP_1)
	v_add_nc_u32_e32 v15, 1, v14
	v_cndmask_b32_e64 v14, v15, v14, s1
	s_delay_alu instid0(VALU_DEP_1) | instskip(SKIP_1) | instid1(SALU_CYCLE_1)
	v_cmp_lt_i32_e64 s0, v14, v13
	s_and_b32 s4, s0, vcc_lo
	s_and_saveexec_b32 s0, s4
	s_cbranch_execz .LBB26_95
; %bb.92:
	s_mov_b32 s3, 0
	s_mov_b32 s4, exec_lo
	v_cmpx_eq_f32_e32 v8, v6
; %bb.93:
	v_cmp_lt_f32_e32 vcc_lo, v9, v7
	s_and_b32 s3, vcc_lo, exec_lo
; %bb.94:
	s_or_b32 exec_lo, exec_lo, s4
	s_delay_alu instid0(SALU_CYCLE_1)
	s_or_not1_b32 s3, s3, exec_lo
.LBB26_95:
	s_or_b32 exec_lo, exec_lo, s0
	s_delay_alu instid0(SALU_CYCLE_1)
	s_and_b32 s0, s3, exec_lo
.LBB26_96:
	s_or_b32 exec_lo, exec_lo, s2
	v_dual_cndmask_b32 v4, v2, v4, s1 :: v_dual_cndmask_b32 v5, v3, v5, s1
	v_sub_nc_u32_e64 v13, v10, 32 clamp
	s_wait_dscnt 0x0
	v_dual_cndmask_b32 v7, v7, v9, s0 :: v_dual_min_i32 v2, 32, v10
	v_cndmask_b32_e64 v6, v6, v8, s0
	s_mov_b32 s0, exec_lo
	; wave barrier
	ds_store_2addr_b64 v11, v[4:5], v[6:7] offset1:1
	; wave barrier
	v_cmpx_lt_u32_e64 v13, v2
	s_cbranch_execz .LBB26_104
; %bb.97:
	s_mov_b32 s1, 0
                                        ; implicit-def: $sgpr2
	s_branch .LBB26_100
.LBB26_98:                              ;   in Loop: Header=BB26_100 Depth=1
	s_or_b32 exec_lo, exec_lo, s5
	s_delay_alu instid0(SALU_CYCLE_1) | instskip(SKIP_1) | instid1(SALU_CYCLE_1)
	s_and_not1_b32 s2, s2, exec_lo
	s_and_b32 s4, s4, exec_lo
	s_or_b32 s2, s2, s4
.LBB26_99:                              ;   in Loop: Header=BB26_100 Depth=1
	s_or_b32 exec_lo, exec_lo, s3
	v_dual_add_nc_u32 v4, 1, v3 :: v_dual_cndmask_b32 v2, v2, v3, s2
	s_delay_alu instid0(VALU_DEP_1) | instskip(NEXT) | instid1(VALU_DEP_1)
	v_cndmask_b32_e64 v13, v4, v13, s2
	v_cmp_ge_i32_e32 vcc_lo, v13, v2
	s_or_b32 s1, vcc_lo, s1
	s_delay_alu instid0(SALU_CYCLE_1)
	s_and_not1_b32 exec_lo, exec_lo, s1
	s_cbranch_execz .LBB26_103
.LBB26_100:                             ; =>This Inner Loop Header: Depth=1
	v_sub_nc_u32_e32 v3, v2, v13
	s_or_b32 s2, s2, exec_lo
	s_mov_b32 s3, exec_lo
	s_delay_alu instid0(VALU_DEP_1) | instskip(NEXT) | instid1(VALU_DEP_1)
	v_lshrrev_b32_e32 v3, 1, v3
	v_add_nc_u32_e32 v3, v3, v13
	s_delay_alu instid0(VALU_DEP_1) | instskip(SKIP_1) | instid1(VALU_DEP_2)
	v_not_b32_e32 v5, v3
	v_lshl_add_u32 v4, v3, 3, v12
	v_lshl_add_u32 v5, v5, 3, v11
	ds_load_b32 v6, v4
	ds_load_b32 v7, v5 offset:256
	s_wait_dscnt 0x0
	v_cmpx_nlt_f32_e32 v7, v6
	s_cbranch_execz .LBB26_99
; %bb.101:                              ;   in Loop: Header=BB26_100 Depth=1
	s_mov_b32 s4, 0
	s_mov_b32 s5, exec_lo
	v_cmpx_eq_f32_e32 v7, v6
	s_cbranch_execz .LBB26_98
; %bb.102:                              ;   in Loop: Header=BB26_100 Depth=1
	ds_load_b32 v5, v5 offset:260
	ds_load_b32 v4, v4 offset:4
	s_wait_dscnt 0x0
	v_cmp_lt_f32_e32 vcc_lo, v5, v4
	s_and_b32 s4, vcc_lo, exec_lo
	s_branch .LBB26_98
.LBB26_103:
	s_or_b32 exec_lo, exec_lo, s1
.LBB26_104:
	s_delay_alu instid0(SALU_CYCLE_1) | instskip(SKIP_4) | instid1(VALU_DEP_2)
	s_or_b32 exec_lo, exec_lo, s0
	v_sub_nc_u32_e32 v6, v10, v13
	v_lshl_add_u32 v8, v13, 3, v12
	s_mov_b32 s1, 0
	s_mov_b32 s2, exec_lo
	v_lshl_add_u32 v11, v6, 3, v12
	v_add_nc_u32_e32 v10, 32, v6
	ds_load_b64 v[2:3], v8
	ds_load_b64 v[4:5], v11 offset:256
	v_cmpx_gt_i32_e32 64, v10
	s_cbranch_execz .LBB26_110
; %bb.105:
	v_cmp_gt_i32_e32 vcc_lo, 32, v13
	s_wait_dscnt 0x0
	v_cmp_nlt_f32_e64 s0, v4, v2
	s_mov_b32 s1, -1
	s_and_b32 s3, vcc_lo, s0
	s_delay_alu instid0(SALU_CYCLE_1)
	s_and_saveexec_b32 s0, s3
	s_cbranch_execz .LBB26_109
; %bb.106:
	s_mov_b32 s1, 0
	s_mov_b32 s3, exec_lo
	v_cmpx_eq_f32_e32 v4, v2
; %bb.107:
	v_cmp_lt_f32_e32 vcc_lo, v5, v3
	s_and_b32 s1, vcc_lo, exec_lo
; %bb.108:
	s_or_b32 exec_lo, exec_lo, s3
	s_delay_alu instid0(SALU_CYCLE_1)
	s_or_not1_b32 s1, s1, exec_lo
.LBB26_109:
	s_or_b32 exec_lo, exec_lo, s0
	s_delay_alu instid0(SALU_CYCLE_1)
	s_and_b32 s1, s1, exec_lo
.LBB26_110:
	s_or_b32 exec_lo, exec_lo, s2
	s_xor_b32 s0, s1, -1
                                        ; implicit-def: $vgpr6_vgpr7
	s_delay_alu instid0(SALU_CYCLE_1) | instskip(NEXT) | instid1(SALU_CYCLE_1)
	s_and_saveexec_b32 s2, s0
	s_xor_b32 s0, exec_lo, s2
; %bb.111:
	ds_load_b64 v[6:7], v8 offset:8
                                        ; implicit-def: $vgpr11
; %bb.112:
	s_or_saveexec_b32 s0, s0
	s_wait_dscnt 0x0
	v_mov_b64_e32 v[8:9], v[4:5]
	s_xor_b32 exec_lo, exec_lo, s0
; %bb.113:
	ds_load_b64 v[8:9], v11 offset:264
	v_mov_b64_e32 v[6:7], v[2:3]
; %bb.114:
	s_or_b32 exec_lo, exec_lo, s0
	v_add_nc_u32_e32 v11, 1, v10
	s_mov_b32 s0, 0
	s_mov_b32 s2, exec_lo
	s_delay_alu instid0(VALU_DEP_1) | instskip(NEXT) | instid1(VALU_DEP_1)
	v_cndmask_b32_e64 v10, v10, v11, s1
	v_cmpx_gt_i32_e32 64, v10
	s_cbranch_execz .LBB26_120
; %bb.115:
	v_add_nc_u32_e32 v10, 1, v13
	s_wait_dscnt 0x0
	v_cmp_nlt_f32_e32 vcc_lo, v8, v6
	s_mov_b32 s3, -1
	s_delay_alu instid0(VALU_DEP_2) | instskip(NEXT) | instid1(VALU_DEP_1)
	v_cndmask_b32_e64 v10, v10, v13, s1
	v_cmp_gt_i32_e64 s0, 32, v10
	s_and_b32 s4, s0, vcc_lo
	s_delay_alu instid0(SALU_CYCLE_1)
	s_and_saveexec_b32 s0, s4
	s_cbranch_execz .LBB26_119
; %bb.116:
	s_mov_b32 s3, 0
	s_mov_b32 s4, exec_lo
	v_cmpx_eq_f32_e32 v8, v6
; %bb.117:
	v_cmp_lt_f32_e32 vcc_lo, v9, v7
	s_and_b32 s3, vcc_lo, exec_lo
; %bb.118:
	s_or_b32 exec_lo, exec_lo, s4
	s_delay_alu instid0(SALU_CYCLE_1)
	s_or_not1_b32 s3, s3, exec_lo
.LBB26_119:
	s_or_b32 exec_lo, exec_lo, s0
	s_delay_alu instid0(SALU_CYCLE_1)
	s_and_b32 s0, s3, exec_lo
.LBB26_120:
	s_or_b32 exec_lo, exec_lo, s2
	v_dual_cndmask_b32 v3, v3, v5, s1 :: v_dual_cndmask_b32 v2, v2, v4, s1
	s_wait_dscnt 0x0
	v_dual_cndmask_b32 v5, v7, v9, s0 :: v_dual_cndmask_b32 v4, v6, v8, s0
	global_store_b128 v[0:1], v[2:5], off
	s_endpgm
	.section	.rodata,"a",@progbits
	.p2align	6, 0x0
	.amdhsa_kernel _Z14sort_keys_fullILj256ELj32ELj2ELb0EN10test_utils16custom_test_typeIfEENS0_4lessEEvPT3_T4_
		.amdhsa_group_segment_fixed_size 4160
		.amdhsa_private_segment_fixed_size 0
		.amdhsa_kernarg_size 12
		.amdhsa_user_sgpr_count 2
		.amdhsa_user_sgpr_dispatch_ptr 0
		.amdhsa_user_sgpr_queue_ptr 0
		.amdhsa_user_sgpr_kernarg_segment_ptr 1
		.amdhsa_user_sgpr_dispatch_id 0
		.amdhsa_user_sgpr_kernarg_preload_length 0
		.amdhsa_user_sgpr_kernarg_preload_offset 0
		.amdhsa_user_sgpr_private_segment_size 0
		.amdhsa_wavefront_size32 1
		.amdhsa_uses_dynamic_stack 0
		.amdhsa_enable_private_segment 0
		.amdhsa_system_sgpr_workgroup_id_x 1
		.amdhsa_system_sgpr_workgroup_id_y 0
		.amdhsa_system_sgpr_workgroup_id_z 0
		.amdhsa_system_sgpr_workgroup_info 0
		.amdhsa_system_vgpr_workitem_id 0
		.amdhsa_next_free_vgpr 20
		.amdhsa_next_free_sgpr 8
		.amdhsa_named_barrier_count 0
		.amdhsa_reserve_vcc 1
		.amdhsa_float_round_mode_32 0
		.amdhsa_float_round_mode_16_64 0
		.amdhsa_float_denorm_mode_32 3
		.amdhsa_float_denorm_mode_16_64 3
		.amdhsa_fp16_overflow 0
		.amdhsa_memory_ordered 1
		.amdhsa_forward_progress 1
		.amdhsa_inst_pref_size 29
		.amdhsa_round_robin_scheduling 0
		.amdhsa_exception_fp_ieee_invalid_op 0
		.amdhsa_exception_fp_denorm_src 0
		.amdhsa_exception_fp_ieee_div_zero 0
		.amdhsa_exception_fp_ieee_overflow 0
		.amdhsa_exception_fp_ieee_underflow 0
		.amdhsa_exception_fp_ieee_inexact 0
		.amdhsa_exception_int_div_zero 0
	.end_amdhsa_kernel
	.section	.text._Z14sort_keys_fullILj256ELj32ELj2ELb0EN10test_utils16custom_test_typeIfEENS0_4lessEEvPT3_T4_,"axG",@progbits,_Z14sort_keys_fullILj256ELj32ELj2ELb0EN10test_utils16custom_test_typeIfEENS0_4lessEEvPT3_T4_,comdat
.Lfunc_end26:
	.size	_Z14sort_keys_fullILj256ELj32ELj2ELb0EN10test_utils16custom_test_typeIfEENS0_4lessEEvPT3_T4_, .Lfunc_end26-_Z14sort_keys_fullILj256ELj32ELj2ELb0EN10test_utils16custom_test_typeIfEENS0_4lessEEvPT3_T4_
                                        ; -- End function
	.set _Z14sort_keys_fullILj256ELj32ELj2ELb0EN10test_utils16custom_test_typeIfEENS0_4lessEEvPT3_T4_.num_vgpr, 20
	.set _Z14sort_keys_fullILj256ELj32ELj2ELb0EN10test_utils16custom_test_typeIfEENS0_4lessEEvPT3_T4_.num_agpr, 0
	.set _Z14sort_keys_fullILj256ELj32ELj2ELb0EN10test_utils16custom_test_typeIfEENS0_4lessEEvPT3_T4_.numbered_sgpr, 8
	.set _Z14sort_keys_fullILj256ELj32ELj2ELb0EN10test_utils16custom_test_typeIfEENS0_4lessEEvPT3_T4_.num_named_barrier, 0
	.set _Z14sort_keys_fullILj256ELj32ELj2ELb0EN10test_utils16custom_test_typeIfEENS0_4lessEEvPT3_T4_.private_seg_size, 0
	.set _Z14sort_keys_fullILj256ELj32ELj2ELb0EN10test_utils16custom_test_typeIfEENS0_4lessEEvPT3_T4_.uses_vcc, 1
	.set _Z14sort_keys_fullILj256ELj32ELj2ELb0EN10test_utils16custom_test_typeIfEENS0_4lessEEvPT3_T4_.uses_flat_scratch, 0
	.set _Z14sort_keys_fullILj256ELj32ELj2ELb0EN10test_utils16custom_test_typeIfEENS0_4lessEEvPT3_T4_.has_dyn_sized_stack, 0
	.set _Z14sort_keys_fullILj256ELj32ELj2ELb0EN10test_utils16custom_test_typeIfEENS0_4lessEEvPT3_T4_.has_recursion, 0
	.set _Z14sort_keys_fullILj256ELj32ELj2ELb0EN10test_utils16custom_test_typeIfEENS0_4lessEEvPT3_T4_.has_indirect_call, 0
	.section	.AMDGPU.csdata,"",@progbits
; Kernel info:
; codeLenInByte = 3628
; TotalNumSgprs: 10
; NumVgprs: 20
; ScratchSize: 0
; MemoryBound: 0
; FloatMode: 240
; IeeeMode: 1
; LDSByteSize: 4160 bytes/workgroup (compile time only)
; SGPRBlocks: 0
; VGPRBlocks: 1
; NumSGPRsForWavesPerEU: 10
; NumVGPRsForWavesPerEU: 20
; NamedBarCnt: 0
; Occupancy: 16
; WaveLimiterHint : 0
; COMPUTE_PGM_RSRC2:SCRATCH_EN: 0
; COMPUTE_PGM_RSRC2:USER_SGPR: 2
; COMPUTE_PGM_RSRC2:TRAP_HANDLER: 0
; COMPUTE_PGM_RSRC2:TGID_X_EN: 1
; COMPUTE_PGM_RSRC2:TGID_Y_EN: 0
; COMPUTE_PGM_RSRC2:TGID_Z_EN: 0
; COMPUTE_PGM_RSRC2:TIDIG_COMP_CNT: 0
	.section	.text._Z14sort_keys_fullILj32ELj32ELj1ELb0E12hip_bfloat16N10test_utils4lessEEvPT3_T4_,"axG",@progbits,_Z14sort_keys_fullILj32ELj32ELj1ELb0E12hip_bfloat16N10test_utils4lessEEvPT3_T4_,comdat
	.protected	_Z14sort_keys_fullILj32ELj32ELj1ELb0E12hip_bfloat16N10test_utils4lessEEvPT3_T4_ ; -- Begin function _Z14sort_keys_fullILj32ELj32ELj1ELb0E12hip_bfloat16N10test_utils4lessEEvPT3_T4_
	.globl	_Z14sort_keys_fullILj32ELj32ELj1ELb0E12hip_bfloat16N10test_utils4lessEEvPT3_T4_
	.p2align	8
	.type	_Z14sort_keys_fullILj32ELj32ELj1ELb0E12hip_bfloat16N10test_utils4lessEEvPT3_T4_,@function
_Z14sort_keys_fullILj32ELj32ELj1ELb0E12hip_bfloat16N10test_utils4lessEEvPT3_T4_: ; @_Z14sort_keys_fullILj32ELj32ELj1ELb0E12hip_bfloat16N10test_utils4lessEEvPT3_T4_
; %bb.0:
	s_load_b64 s[0:1], s[0:1], 0x0
	s_bfe_u32 s2, ttmp6, 0x4000c
	s_and_b32 s3, ttmp6, 15
	s_add_co_i32 s2, s2, 1
	s_getreg_b32 s4, hwreg(HW_REG_IB_STS2, 6, 4)
	s_mul_i32 s2, ttmp9, s2
	v_mbcnt_lo_u32_b32 v2, -1, 0
	s_add_co_i32 s3, s3, s2
	s_cmp_eq_u32 s4, 0
	v_mov_b32_e32 v1, 0
	s_cselect_b32 s2, ttmp9, s3
	s_mov_b32 s3, 0
	s_lshl_b32 s2, s2, 5
	v_and_b32_e32 v5, 30, v2
	s_lshl_b64 s[4:5], s[2:3], 1
	v_mov_b32_e32 v7, v1
	s_mov_b32 s2, exec_lo
	s_delay_alu instid0(VALU_DEP_2)
	v_dual_lshlrev_b32 v8, 1, v5 :: v_dual_bitop2_b32 v4, 1, v5 bitop3:0x54
	s_wait_kmcnt 0x0
	s_add_nc_u64 s[0:1], s[0:1], s[4:5]
	global_load_u16 v9, v0, s[0:1] scale_offset
	s_wait_xcnt 0x0
	v_dual_lshlrev_b32 v0, 1, v0 :: v_dual_bitop2_b32 v6, 1, v2 bitop3:0x40
	v_sub_nc_u32_e32 v3, v4, v5
	; wave barrier
	s_delay_alu instid0(VALU_DEP_1)
	v_dual_lshlrev_b32 v3, 1, v2 :: v_dual_min_i32 v10, v6, v3
	s_wait_loadcnt 0x0
	ds_store_b16 v3, v9
	; wave barrier
	v_cmpx_lt_i32_e32 0, v10
	s_cbranch_execz .LBB27_4
; %bb.1:
	v_dual_mov_b32 v9, 1 :: v_dual_mov_b32 v7, v1
	v_lshl_add_u32 v10, v6, 1, v8
.LBB27_2:                               ; =>This Inner Loop Header: Depth=1
	s_delay_alu instid0(VALU_DEP_2) | instskip(NEXT) | instid1(VALU_DEP_1)
	v_sub_nc_u32_e32 v11, v9, v7
	v_lshrrev_b32_e32 v11, 1, v11
	s_delay_alu instid0(VALU_DEP_1) | instskip(NEXT) | instid1(VALU_DEP_1)
	v_add_nc_u32_e32 v11, v11, v7
	v_not_b32_e32 v12, v11
	v_lshl_add_u32 v13, v11, 1, v8
	s_delay_alu instid0(VALU_DEP_2) | instskip(SKIP_4) | instid1(VALU_DEP_1)
	v_lshl_add_u32 v12, v12, 1, v10
	ds_load_u16 v13, v13
	ds_load_u16 v12, v12 offset:2
	s_wait_dscnt 0x0
	v_dual_lshlrev_b32 v13, 16, v13 :: v_dual_lshlrev_b32 v12, 16, v12
	v_cmp_lt_f32_e32 vcc_lo, v12, v13
	v_add_nc_u32_e32 v14, 1, v11
	s_delay_alu instid0(VALU_DEP_1) | instskip(SKIP_1) | instid1(VALU_DEP_1)
	v_cndmask_b32_e32 v7, v14, v7, vcc_lo
	v_cndmask_b32_e32 v9, v9, v11, vcc_lo
	v_cmp_ge_i32_e32 vcc_lo, v7, v9
	s_or_b32 s3, vcc_lo, s3
	s_delay_alu instid0(SALU_CYCLE_1)
	s_and_not1_b32 exec_lo, exec_lo, s3
	s_cbranch_execnz .LBB27_2
; %bb.3:
	s_or_b32 exec_lo, exec_lo, s3
.LBB27_4:
	s_delay_alu instid0(SALU_CYCLE_1)
	s_or_b32 exec_lo, exec_lo, s2
	v_add_nc_u32_e32 v5, v5, v6
	v_lshl_add_u32 v8, v7, 1, v8
	v_add_nc_u64_e32 v[0:1], s[0:1], v[0:1]
	v_cmp_lt_i32_e32 vcc_lo, 0, v7
	s_mov_b32 s2, 0
	v_sub_nc_u32_e32 v5, v5, v7
	s_delay_alu instid0(VALU_DEP_1) | instskip(SKIP_4) | instid1(VALU_DEP_2)
	v_lshlrev_b32_e32 v5, 1, v5
	ds_load_u16 v10, v8
	ds_load_u16 v11, v5 offset:2
	v_add_nc_u32_e32 v8, v4, v6
	v_and_b32_e32 v5, 28, v2
	; wave barrier
	v_sub_nc_u32_e32 v13, v8, v7
	s_delay_alu instid0(VALU_DEP_1) | instskip(SKIP_1) | instid1(VALU_DEP_3)
	v_cmp_ge_i32_e64 s1, v4, v13
	s_wait_dscnt 0x1
	v_dual_lshlrev_b32 v4, 1, v5 :: v_dual_lshlrev_b32 v9, 16, v10
	s_wait_dscnt 0x0
	v_lshlrev_b32_e32 v12, 16, v11
	s_delay_alu instid0(VALU_DEP_1) | instskip(SKIP_1) | instid1(SALU_CYCLE_1)
	v_cmp_lt_f32_e64 s0, v12, v9
	s_or_b32 s0, vcc_lo, s0
	s_and_b32 vcc_lo, s1, s0
	s_delay_alu instid0(SALU_CYCLE_1) | instskip(SKIP_2) | instid1(VALU_DEP_2)
	v_dual_cndmask_b32 v10, v10, v11, vcc_lo :: v_dual_bitop2_b32 v6, 2, v5 bitop3:0x54
	v_and_b32_e32 v8, 3, v2
	s_mov_b32 s0, exec_lo
	v_sub_nc_u32_e32 v9, v6, v5
	ds_store_b16 v3, v10
	v_sub_nc_u32_e64 v7, v8, 2 clamp
	; wave barrier
	v_min_i32_e32 v9, v8, v9
	s_delay_alu instid0(VALU_DEP_1)
	v_cmpx_lt_i32_e64 v7, v9
	s_cbranch_execz .LBB27_8
; %bb.5:
	v_lshl_add_u32 v10, v8, 1, v4
.LBB27_6:                               ; =>This Inner Loop Header: Depth=1
	v_sub_nc_u32_e32 v11, v9, v7
	s_delay_alu instid0(VALU_DEP_1) | instskip(NEXT) | instid1(VALU_DEP_1)
	v_lshrrev_b32_e32 v11, 1, v11
	v_add_nc_u32_e32 v11, v11, v7
	s_delay_alu instid0(VALU_DEP_1) | instskip(SKIP_1) | instid1(VALU_DEP_2)
	v_not_b32_e32 v12, v11
	v_lshl_add_u32 v13, v11, 1, v4
	v_lshl_add_u32 v12, v12, 1, v10
	ds_load_u16 v13, v13
	ds_load_u16 v12, v12 offset:4
	s_wait_dscnt 0x0
	v_dual_lshlrev_b32 v13, 16, v13 :: v_dual_lshlrev_b32 v12, 16, v12
	s_delay_alu instid0(VALU_DEP_1) | instskip(SKIP_1) | instid1(VALU_DEP_1)
	v_cmp_lt_f32_e32 vcc_lo, v12, v13
	v_add_nc_u32_e32 v14, 1, v11
	v_cndmask_b32_e32 v7, v14, v7, vcc_lo
	v_cndmask_b32_e32 v9, v9, v11, vcc_lo
	s_delay_alu instid0(VALU_DEP_1) | instskip(SKIP_1) | instid1(SALU_CYCLE_1)
	v_cmp_ge_i32_e32 vcc_lo, v7, v9
	s_or_b32 s2, vcc_lo, s2
	s_and_not1_b32 exec_lo, exec_lo, s2
	s_cbranch_execnz .LBB27_6
; %bb.7:
	s_or_b32 exec_lo, exec_lo, s2
.LBB27_8:
	s_delay_alu instid0(SALU_CYCLE_1) | instskip(SKIP_3) | instid1(VALU_DEP_3)
	s_or_b32 exec_lo, exec_lo, s0
	v_add_nc_u32_e32 v9, v5, v8
	v_lshl_add_u32 v4, v7, 1, v4
	v_cmp_lt_i32_e32 vcc_lo, 1, v7
	v_dual_add_nc_u32 v6, v6, v8 :: v_dual_sub_nc_u32 v9, v9, v7
	s_delay_alu instid0(VALU_DEP_1) | instskip(SKIP_3) | instid1(VALU_DEP_1)
	v_dual_sub_nc_u32 v6, v6, v7 :: v_dual_lshlrev_b32 v9, 1, v9
	ds_load_u16 v10, v4
	ds_load_u16 v11, v9 offset:4
	v_dual_add_nc_u32 v8, 4, v5 :: v_dual_bitop2_b32 v4, 24, v2 bitop3:0x40
	; wave barrier
	v_or_b32_e32 v5, 4, v4
	v_and_b32_e32 v7, 7, v2
	s_wait_dscnt 0x0
	v_dual_lshlrev_b32 v9, 16, v10 :: v_dual_lshlrev_b32 v12, 16, v11
	v_cmp_gt_i32_e64 s1, v8, v6
	v_lshlrev_b32_e32 v8, 1, v4
	s_delay_alu instid0(VALU_DEP_3) | instskip(SKIP_3) | instid1(SALU_CYCLE_1)
	v_cmp_lt_f32_e64 s0, v12, v9
	v_sub_nc_u32_e32 v9, v5, v4
	v_sub_nc_u32_e64 v6, v7, 4 clamp
	s_or_b32 s0, vcc_lo, s0
	s_and_b32 vcc_lo, s1, s0
	s_delay_alu instid0(VALU_DEP_2)
	v_dual_cndmask_b32 v10, v10, v11 :: v_dual_min_i32 v9, v7, v9
	s_mov_b32 s0, exec_lo
	ds_store_b16 v3, v10
	; wave barrier
	v_cmpx_lt_i32_e64 v6, v9
	s_cbranch_execz .LBB27_12
; %bb.9:
	v_lshl_add_u32 v10, v7, 1, v8
	s_mov_b32 s1, 0
.LBB27_10:                              ; =>This Inner Loop Header: Depth=1
	v_sub_nc_u32_e32 v11, v9, v6
	s_delay_alu instid0(VALU_DEP_1) | instskip(NEXT) | instid1(VALU_DEP_1)
	v_lshrrev_b32_e32 v11, 1, v11
	v_add_nc_u32_e32 v11, v11, v6
	s_delay_alu instid0(VALU_DEP_1) | instskip(SKIP_1) | instid1(VALU_DEP_2)
	v_not_b32_e32 v12, v11
	v_lshl_add_u32 v13, v11, 1, v8
	v_lshl_add_u32 v12, v12, 1, v10
	ds_load_u16 v13, v13
	ds_load_u16 v12, v12 offset:8
	s_wait_dscnt 0x0
	v_dual_lshlrev_b32 v13, 16, v13 :: v_dual_lshlrev_b32 v12, 16, v12
	s_delay_alu instid0(VALU_DEP_1) | instskip(SKIP_1) | instid1(VALU_DEP_1)
	v_cmp_lt_f32_e32 vcc_lo, v12, v13
	v_add_nc_u32_e32 v14, 1, v11
	v_dual_cndmask_b32 v6, v14, v6 :: v_dual_cndmask_b32 v9, v9, v11
	s_delay_alu instid0(VALU_DEP_1) | instskip(SKIP_1) | instid1(SALU_CYCLE_1)
	v_cmp_ge_i32_e32 vcc_lo, v6, v9
	s_or_b32 s1, vcc_lo, s1
	s_and_not1_b32 exec_lo, exec_lo, s1
	s_cbranch_execnz .LBB27_10
; %bb.11:
	s_or_b32 exec_lo, exec_lo, s1
.LBB27_12:
	s_delay_alu instid0(SALU_CYCLE_1) | instskip(SKIP_4) | instid1(VALU_DEP_4)
	s_or_b32 exec_lo, exec_lo, s0
	v_add_nc_u32_e32 v9, v4, v7
	v_lshl_add_u32 v8, v6, 1, v8
	v_add_nc_u32_e32 v5, v5, v7
	v_cmp_lt_i32_e32 vcc_lo, 3, v6
	v_dual_add_nc_u32 v7, 8, v4 :: v_dual_sub_nc_u32 v9, v9, v6
	s_delay_alu instid0(VALU_DEP_1)
	v_lshlrev_b32_e32 v9, 1, v9
	ds_load_u16 v10, v8
	ds_load_u16 v11, v9 offset:8
	v_and_b32_e32 v8, 16, v2
	; wave barrier
	s_wait_dscnt 0x0
	v_dual_lshlrev_b32 v9, 16, v10 :: v_dual_lshlrev_b32 v12, 16, v11
	s_delay_alu instid0(VALU_DEP_2) | instskip(SKIP_1) | instid1(VALU_DEP_3)
	v_dual_sub_nc_u32 v5, v5, v6 :: v_dual_bitop2_b32 v4, 8, v8 bitop3:0x54
	v_and_b32_e32 v6, 15, v2
	v_cmp_lt_f32_e64 s0, v12, v9
	s_delay_alu instid0(VALU_DEP_3) | instskip(NEXT) | instid1(VALU_DEP_4)
	v_sub_nc_u32_e32 v9, v4, v8
	v_cmp_gt_i32_e64 s1, v7, v5
	s_delay_alu instid0(VALU_DEP_4)
	v_sub_nc_u32_e64 v5, v6, 8 clamp
	v_lshlrev_b32_e32 v7, 1, v8
	s_or_b32 s0, vcc_lo, s0
	v_min_i32_e32 v9, v6, v9
	s_and_b32 vcc_lo, s1, s0
	s_mov_b32 s0, exec_lo
	v_cndmask_b32_e32 v10, v10, v11, vcc_lo
	ds_store_b16 v3, v10
	; wave barrier
	v_cmpx_lt_i32_e64 v5, v9
	s_cbranch_execz .LBB27_16
; %bb.13:
	v_lshl_add_u32 v10, v6, 1, v7
	s_mov_b32 s1, 0
.LBB27_14:                              ; =>This Inner Loop Header: Depth=1
	v_sub_nc_u32_e32 v11, v9, v5
	s_delay_alu instid0(VALU_DEP_1) | instskip(NEXT) | instid1(VALU_DEP_1)
	v_lshrrev_b32_e32 v11, 1, v11
	v_add_nc_u32_e32 v11, v11, v5
	s_delay_alu instid0(VALU_DEP_1) | instskip(SKIP_1) | instid1(VALU_DEP_2)
	v_not_b32_e32 v12, v11
	v_lshl_add_u32 v13, v11, 1, v7
	v_lshl_add_u32 v12, v12, 1, v10
	ds_load_u16 v13, v13
	ds_load_u16 v12, v12 offset:16
	s_wait_dscnt 0x0
	v_dual_lshlrev_b32 v13, 16, v13 :: v_dual_lshlrev_b32 v12, 16, v12
	s_delay_alu instid0(VALU_DEP_1) | instskip(SKIP_1) | instid1(VALU_DEP_1)
	v_cmp_lt_f32_e32 vcc_lo, v12, v13
	v_add_nc_u32_e32 v14, 1, v11
	v_dual_cndmask_b32 v5, v14, v5, vcc_lo :: v_dual_cndmask_b32 v9, v9, v11, vcc_lo
	s_delay_alu instid0(VALU_DEP_1) | instskip(SKIP_1) | instid1(SALU_CYCLE_1)
	v_cmp_ge_i32_e32 vcc_lo, v5, v9
	s_or_b32 s1, vcc_lo, s1
	s_and_not1_b32 exec_lo, exec_lo, s1
	s_cbranch_execnz .LBB27_14
; %bb.15:
	s_or_b32 exec_lo, exec_lo, s1
.LBB27_16:
	s_delay_alu instid0(SALU_CYCLE_1) | instskip(SKIP_4) | instid1(VALU_DEP_1)
	s_or_b32 exec_lo, exec_lo, s0
	v_add_nc_u32_e32 v9, v8, v6
	v_lshl_add_u32 v7, v5, 1, v7
	v_cmp_lt_i32_e32 vcc_lo, 7, v5
	v_dual_add_nc_u32 v4, v4, v6 :: v_dual_add_nc_u32 v8, 16, v8
	v_dual_sub_nc_u32 v9, v9, v5 :: v_dual_sub_nc_u32 v4, v4, v5
	v_min_u32_e32 v5, 16, v2
	s_delay_alu instid0(VALU_DEP_2)
	v_lshlrev_b32_e32 v9, 1, v9
	ds_load_u16 v7, v7
	ds_load_u16 v9, v9 offset:16
	v_cmp_gt_i32_e64 s1, v8, v4
	v_sub_nc_u32_e64 v4, v2, 16 clamp
	; wave barrier
	s_wait_dscnt 0x0
	v_dual_lshlrev_b32 v6, 16, v7 :: v_dual_lshlrev_b32 v10, 16, v9
	s_delay_alu instid0(VALU_DEP_1) | instskip(SKIP_1) | instid1(SALU_CYCLE_1)
	v_cmp_lt_f32_e64 s0, v10, v6
	s_or_b32 s0, vcc_lo, s0
	s_and_b32 vcc_lo, s1, s0
	s_mov_b32 s0, exec_lo
	v_cndmask_b32_e32 v6, v7, v9, vcc_lo
	ds_store_b16 v3, v6
	; wave barrier
	v_cmpx_lt_u32_e64 v4, v5
	s_cbranch_execz .LBB27_20
; %bb.17:
	s_mov_b32 s1, 0
.LBB27_18:                              ; =>This Inner Loop Header: Depth=1
	v_sub_nc_u32_e32 v6, v5, v4
	s_delay_alu instid0(VALU_DEP_1) | instskip(NEXT) | instid1(VALU_DEP_1)
	v_lshrrev_b32_e32 v6, 1, v6
	v_add_nc_u32_e32 v6, v6, v4
	s_delay_alu instid0(VALU_DEP_1) | instskip(SKIP_1) | instid1(VALU_DEP_2)
	v_not_b32_e32 v7, v6
	v_dual_lshlrev_b32 v8, 1, v6 :: v_dual_add_nc_u32 v9, 1, v6
	v_lshl_add_u32 v7, v7, 1, v3
	ds_load_u16 v8, v8
	ds_load_u16 v7, v7 offset:32
	s_wait_dscnt 0x0
	v_dual_lshlrev_b32 v8, 16, v8 :: v_dual_lshlrev_b32 v7, 16, v7
	s_delay_alu instid0(VALU_DEP_1) | instskip(SKIP_2) | instid1(VALU_DEP_1)
	v_cmp_lt_f32_e32 vcc_lo, v7, v8
	v_cndmask_b32_e32 v4, v9, v4, vcc_lo
	v_cndmask_b32_e32 v5, v5, v6, vcc_lo
	v_cmp_ge_i32_e32 vcc_lo, v4, v5
	s_or_b32 s1, vcc_lo, s1
	s_delay_alu instid0(SALU_CYCLE_1)
	s_and_not1_b32 exec_lo, exec_lo, s1
	s_cbranch_execnz .LBB27_18
; %bb.19:
	s_or_b32 exec_lo, exec_lo, s1
.LBB27_20:
	s_delay_alu instid0(SALU_CYCLE_1) | instskip(SKIP_2) | instid1(VALU_DEP_2)
	s_or_b32 exec_lo, exec_lo, s0
	v_dual_sub_nc_u32 v2, v2, v4 :: v_dual_lshlrev_b32 v3, 1, v4
	v_cmp_lt_i32_e32 vcc_lo, 15, v4
	v_lshlrev_b32_e32 v5, 1, v2
	ds_load_u16 v3, v3
	ds_load_u16 v5, v5 offset:32
	v_add_nc_u32_e32 v2, 16, v2
	s_delay_alu instid0(VALU_DEP_1) | instskip(SKIP_2) | instid1(VALU_DEP_1)
	v_cmp_gt_i32_e64 s1, 32, v2
	s_wait_dscnt 0x0
	v_dual_lshlrev_b32 v6, 16, v3 :: v_dual_lshlrev_b32 v7, 16, v5
	v_cmp_lt_f32_e64 s0, v7, v6
	s_or_b32 s0, vcc_lo, s0
	s_delay_alu instid0(SALU_CYCLE_1)
	s_and_b32 vcc_lo, s1, s0
	v_cndmask_b32_e32 v2, v3, v5, vcc_lo
	global_store_b16 v[0:1], v2, off
	s_endpgm
	.section	.rodata,"a",@progbits
	.p2align	6, 0x0
	.amdhsa_kernel _Z14sort_keys_fullILj32ELj32ELj1ELb0E12hip_bfloat16N10test_utils4lessEEvPT3_T4_
		.amdhsa_group_segment_fixed_size 66
		.amdhsa_private_segment_fixed_size 0
		.amdhsa_kernarg_size 12
		.amdhsa_user_sgpr_count 2
		.amdhsa_user_sgpr_dispatch_ptr 0
		.amdhsa_user_sgpr_queue_ptr 0
		.amdhsa_user_sgpr_kernarg_segment_ptr 1
		.amdhsa_user_sgpr_dispatch_id 0
		.amdhsa_user_sgpr_kernarg_preload_length 0
		.amdhsa_user_sgpr_kernarg_preload_offset 0
		.amdhsa_user_sgpr_private_segment_size 0
		.amdhsa_wavefront_size32 1
		.amdhsa_uses_dynamic_stack 0
		.amdhsa_enable_private_segment 0
		.amdhsa_system_sgpr_workgroup_id_x 1
		.amdhsa_system_sgpr_workgroup_id_y 0
		.amdhsa_system_sgpr_workgroup_id_z 0
		.amdhsa_system_sgpr_workgroup_info 0
		.amdhsa_system_vgpr_workitem_id 0
		.amdhsa_next_free_vgpr 15
		.amdhsa_next_free_sgpr 6
		.amdhsa_named_barrier_count 0
		.amdhsa_reserve_vcc 1
		.amdhsa_float_round_mode_32 0
		.amdhsa_float_round_mode_16_64 0
		.amdhsa_float_denorm_mode_32 3
		.amdhsa_float_denorm_mode_16_64 3
		.amdhsa_fp16_overflow 0
		.amdhsa_memory_ordered 1
		.amdhsa_forward_progress 1
		.amdhsa_inst_pref_size 13
		.amdhsa_round_robin_scheduling 0
		.amdhsa_exception_fp_ieee_invalid_op 0
		.amdhsa_exception_fp_denorm_src 0
		.amdhsa_exception_fp_ieee_div_zero 0
		.amdhsa_exception_fp_ieee_overflow 0
		.amdhsa_exception_fp_ieee_underflow 0
		.amdhsa_exception_fp_ieee_inexact 0
		.amdhsa_exception_int_div_zero 0
	.end_amdhsa_kernel
	.section	.text._Z14sort_keys_fullILj32ELj32ELj1ELb0E12hip_bfloat16N10test_utils4lessEEvPT3_T4_,"axG",@progbits,_Z14sort_keys_fullILj32ELj32ELj1ELb0E12hip_bfloat16N10test_utils4lessEEvPT3_T4_,comdat
.Lfunc_end27:
	.size	_Z14sort_keys_fullILj32ELj32ELj1ELb0E12hip_bfloat16N10test_utils4lessEEvPT3_T4_, .Lfunc_end27-_Z14sort_keys_fullILj32ELj32ELj1ELb0E12hip_bfloat16N10test_utils4lessEEvPT3_T4_
                                        ; -- End function
	.set _Z14sort_keys_fullILj32ELj32ELj1ELb0E12hip_bfloat16N10test_utils4lessEEvPT3_T4_.num_vgpr, 15
	.set _Z14sort_keys_fullILj32ELj32ELj1ELb0E12hip_bfloat16N10test_utils4lessEEvPT3_T4_.num_agpr, 0
	.set _Z14sort_keys_fullILj32ELj32ELj1ELb0E12hip_bfloat16N10test_utils4lessEEvPT3_T4_.numbered_sgpr, 6
	.set _Z14sort_keys_fullILj32ELj32ELj1ELb0E12hip_bfloat16N10test_utils4lessEEvPT3_T4_.num_named_barrier, 0
	.set _Z14sort_keys_fullILj32ELj32ELj1ELb0E12hip_bfloat16N10test_utils4lessEEvPT3_T4_.private_seg_size, 0
	.set _Z14sort_keys_fullILj32ELj32ELj1ELb0E12hip_bfloat16N10test_utils4lessEEvPT3_T4_.uses_vcc, 1
	.set _Z14sort_keys_fullILj32ELj32ELj1ELb0E12hip_bfloat16N10test_utils4lessEEvPT3_T4_.uses_flat_scratch, 0
	.set _Z14sort_keys_fullILj32ELj32ELj1ELb0E12hip_bfloat16N10test_utils4lessEEvPT3_T4_.has_dyn_sized_stack, 0
	.set _Z14sort_keys_fullILj32ELj32ELj1ELb0E12hip_bfloat16N10test_utils4lessEEvPT3_T4_.has_recursion, 0
	.set _Z14sort_keys_fullILj32ELj32ELj1ELb0E12hip_bfloat16N10test_utils4lessEEvPT3_T4_.has_indirect_call, 0
	.section	.AMDGPU.csdata,"",@progbits
; Kernel info:
; codeLenInByte = 1648
; TotalNumSgprs: 8
; NumVgprs: 15
; ScratchSize: 0
; MemoryBound: 0
; FloatMode: 240
; IeeeMode: 1
; LDSByteSize: 66 bytes/workgroup (compile time only)
; SGPRBlocks: 0
; VGPRBlocks: 0
; NumSGPRsForWavesPerEU: 8
; NumVGPRsForWavesPerEU: 15
; NamedBarCnt: 0
; Occupancy: 16
; WaveLimiterHint : 0
; COMPUTE_PGM_RSRC2:SCRATCH_EN: 0
; COMPUTE_PGM_RSRC2:USER_SGPR: 2
; COMPUTE_PGM_RSRC2:TRAP_HANDLER: 0
; COMPUTE_PGM_RSRC2:TGID_X_EN: 1
; COMPUTE_PGM_RSRC2:TGID_Y_EN: 0
; COMPUTE_PGM_RSRC2:TGID_Z_EN: 0
; COMPUTE_PGM_RSRC2:TIDIG_COMP_CNT: 0
	.section	.text._Z14sort_keys_fullILj32ELj32ELj1ELb0E6__halfN10test_utils4lessEEvPT3_T4_,"axG",@progbits,_Z14sort_keys_fullILj32ELj32ELj1ELb0E6__halfN10test_utils4lessEEvPT3_T4_,comdat
	.protected	_Z14sort_keys_fullILj32ELj32ELj1ELb0E6__halfN10test_utils4lessEEvPT3_T4_ ; -- Begin function _Z14sort_keys_fullILj32ELj32ELj1ELb0E6__halfN10test_utils4lessEEvPT3_T4_
	.globl	_Z14sort_keys_fullILj32ELj32ELj1ELb0E6__halfN10test_utils4lessEEvPT3_T4_
	.p2align	8
	.type	_Z14sort_keys_fullILj32ELj32ELj1ELb0E6__halfN10test_utils4lessEEvPT3_T4_,@function
_Z14sort_keys_fullILj32ELj32ELj1ELb0E6__halfN10test_utils4lessEEvPT3_T4_: ; @_Z14sort_keys_fullILj32ELj32ELj1ELb0E6__halfN10test_utils4lessEEvPT3_T4_
; %bb.0:
	s_load_b64 s[0:1], s[0:1], 0x0
	s_bfe_u32 s2, ttmp6, 0x4000c
	s_and_b32 s3, ttmp6, 15
	s_add_co_i32 s2, s2, 1
	s_getreg_b32 s4, hwreg(HW_REG_IB_STS2, 6, 4)
	s_mul_i32 s2, ttmp9, s2
	v_mbcnt_lo_u32_b32 v2, -1, 0
	s_add_co_i32 s3, s3, s2
	s_cmp_eq_u32 s4, 0
	v_mov_b32_e32 v1, 0
	s_cselect_b32 s2, ttmp9, s3
	s_mov_b32 s3, 0
	s_lshl_b32 s2, s2, 5
	v_and_b32_e32 v5, 30, v2
	s_lshl_b64 s[4:5], s[2:3], 1
	v_mov_b32_e32 v7, v1
	s_mov_b32 s2, exec_lo
	s_delay_alu instid0(VALU_DEP_2)
	v_dual_lshlrev_b32 v8, 1, v5 :: v_dual_bitop2_b32 v4, 1, v5 bitop3:0x54
	s_wait_kmcnt 0x0
	s_add_nc_u64 s[0:1], s[0:1], s[4:5]
	global_load_u16 v9, v0, s[0:1] scale_offset
	s_wait_xcnt 0x0
	v_dual_lshlrev_b32 v0, 1, v0 :: v_dual_bitop2_b32 v6, 1, v2 bitop3:0x40
	v_sub_nc_u32_e32 v3, v4, v5
	; wave barrier
	s_delay_alu instid0(VALU_DEP_1)
	v_dual_lshlrev_b32 v3, 1, v2 :: v_dual_min_i32 v10, v6, v3
	s_wait_loadcnt 0x0
	ds_store_b16 v3, v9
	; wave barrier
	v_cmpx_lt_i32_e32 0, v10
	s_cbranch_execz .LBB28_4
; %bb.1:
	v_dual_mov_b32 v9, 1 :: v_dual_mov_b32 v7, v1
	v_lshl_add_u32 v10, v6, 1, v8
.LBB28_2:                               ; =>This Inner Loop Header: Depth=1
	s_delay_alu instid0(VALU_DEP_2) | instskip(NEXT) | instid1(VALU_DEP_1)
	v_sub_nc_u32_e32 v11, v9, v7
	v_lshrrev_b32_e32 v11, 1, v11
	s_delay_alu instid0(VALU_DEP_1) | instskip(NEXT) | instid1(VALU_DEP_1)
	v_add_nc_u32_e32 v11, v11, v7
	v_not_b32_e32 v12, v11
	v_lshl_add_u32 v13, v11, 1, v8
	s_delay_alu instid0(VALU_DEP_2)
	v_lshl_add_u32 v12, v12, 1, v10
	ds_load_u16 v13, v13
	ds_load_u16 v12, v12 offset:2
	s_wait_dscnt 0x0
	v_cmp_lt_f16_e32 vcc_lo, v12, v13
	v_dual_cndmask_b32 v9, v9, v11 :: v_dual_add_nc_u32 v14, 1, v11
	s_delay_alu instid0(VALU_DEP_1) | instskip(NEXT) | instid1(VALU_DEP_1)
	v_cndmask_b32_e32 v7, v14, v7, vcc_lo
	v_cmp_ge_i32_e32 vcc_lo, v7, v9
	s_or_b32 s3, vcc_lo, s3
	s_delay_alu instid0(SALU_CYCLE_1)
	s_and_not1_b32 exec_lo, exec_lo, s3
	s_cbranch_execnz .LBB28_2
; %bb.3:
	s_or_b32 exec_lo, exec_lo, s3
.LBB28_4:
	s_delay_alu instid0(SALU_CYCLE_1)
	s_or_b32 exec_lo, exec_lo, s2
	v_add_nc_u32_e32 v5, v5, v6
	v_lshl_add_u32 v8, v7, 1, v8
	v_add_nc_u64_e32 v[0:1], s[0:1], v[0:1]
	v_cmp_lt_i32_e32 vcc_lo, 0, v7
	s_mov_b32 s2, 0
	v_sub_nc_u32_e32 v5, v5, v7
	s_delay_alu instid0(VALU_DEP_1) | instskip(SKIP_3) | instid1(VALU_DEP_1)
	v_lshlrev_b32_e32 v5, 1, v5
	ds_load_u16 v10, v8
	ds_load_u16 v11, v5 offset:2
	v_add_nc_u32_e32 v8, v4, v6
	; wave barrier
	v_dual_sub_nc_u32 v8, v8, v7 :: v_dual_bitop2_b32 v7, 3, v2 bitop3:0x40
	s_delay_alu instid0(VALU_DEP_1) | instskip(NEXT) | instid1(VALU_DEP_2)
	v_cmp_ge_i32_e64 s1, v4, v8
	v_sub_nc_u32_e64 v8, v7, 2 clamp
	s_wait_dscnt 0x0
	v_cmp_lt_f16_e64 s0, v11, v10
	s_or_b32 s0, vcc_lo, s0
	s_delay_alu instid0(SALU_CYCLE_1) | instskip(NEXT) | instid1(SALU_CYCLE_1)
	s_and_b32 vcc_lo, s1, s0
	v_dual_cndmask_b32 v10, v10, v11, vcc_lo :: v_dual_bitop2_b32 v5, 28, v2 bitop3:0x40
	s_mov_b32 s0, exec_lo
	s_delay_alu instid0(VALU_DEP_1) | instskip(SKIP_2) | instid1(VALU_DEP_1)
	v_dual_lshlrev_b32 v4, 1, v5 :: v_dual_bitop2_b32 v6, 2, v5 bitop3:0x54
	ds_store_b16 v3, v10
	; wave barrier
	v_sub_nc_u32_e32 v9, v6, v5
	v_min_i32_e32 v9, v7, v9
	s_delay_alu instid0(VALU_DEP_1)
	v_cmpx_lt_i32_e64 v8, v9
	s_cbranch_execz .LBB28_8
; %bb.5:
	v_lshl_add_u32 v10, v7, 1, v4
.LBB28_6:                               ; =>This Inner Loop Header: Depth=1
	v_sub_nc_u32_e32 v11, v9, v8
	s_delay_alu instid0(VALU_DEP_1) | instskip(NEXT) | instid1(VALU_DEP_1)
	v_lshrrev_b32_e32 v11, 1, v11
	v_add_nc_u32_e32 v11, v11, v8
	s_delay_alu instid0(VALU_DEP_1) | instskip(SKIP_1) | instid1(VALU_DEP_2)
	v_not_b32_e32 v12, v11
	v_lshl_add_u32 v13, v11, 1, v4
	v_lshl_add_u32 v12, v12, 1, v10
	ds_load_u16 v13, v13
	ds_load_u16 v12, v12 offset:4
	s_wait_dscnt 0x0
	v_cmp_lt_f16_e32 vcc_lo, v12, v13
	v_dual_cndmask_b32 v9, v9, v11 :: v_dual_add_nc_u32 v14, 1, v11
	s_delay_alu instid0(VALU_DEP_1) | instskip(NEXT) | instid1(VALU_DEP_1)
	v_cndmask_b32_e32 v8, v14, v8, vcc_lo
	v_cmp_ge_i32_e32 vcc_lo, v8, v9
	s_or_b32 s2, vcc_lo, s2
	s_delay_alu instid0(SALU_CYCLE_1)
	s_and_not1_b32 exec_lo, exec_lo, s2
	s_cbranch_execnz .LBB28_6
; %bb.7:
	s_or_b32 exec_lo, exec_lo, s2
.LBB28_8:
	s_delay_alu instid0(SALU_CYCLE_1) | instskip(SKIP_3) | instid1(VALU_DEP_3)
	s_or_b32 exec_lo, exec_lo, s0
	v_add_nc_u32_e32 v9, v5, v7
	v_lshl_add_u32 v4, v8, 1, v4
	v_cmp_lt_i32_e32 vcc_lo, 1, v8
	v_dual_add_nc_u32 v6, v6, v7 :: v_dual_sub_nc_u32 v9, v9, v8
	s_delay_alu instid0(VALU_DEP_1) | instskip(SKIP_3) | instid1(VALU_DEP_1)
	v_dual_sub_nc_u32 v6, v6, v8 :: v_dual_lshlrev_b32 v9, 1, v9
	ds_load_u16 v10, v4
	ds_load_u16 v11, v9 offset:4
	v_dual_add_nc_u32 v9, 4, v5 :: v_dual_bitop2_b32 v4, 24, v2 bitop3:0x40
	; wave barrier
	v_or_b32_e32 v5, 4, v4
	s_delay_alu instid0(VALU_DEP_2) | instskip(NEXT) | instid1(VALU_DEP_2)
	v_cmp_gt_i32_e64 s1, v9, v6
	v_dual_sub_nc_u32 v8, v5, v4 :: v_dual_bitop2_b32 v7, 7, v2 bitop3:0x40
	s_delay_alu instid0(VALU_DEP_1) | instskip(SKIP_3) | instid1(SALU_CYCLE_1)
	v_sub_nc_u32_e64 v6, v7, 4 clamp
	s_wait_dscnt 0x0
	v_cmp_lt_f16_e64 s0, v11, v10
	s_or_b32 s0, vcc_lo, s0
	s_and_b32 vcc_lo, s1, s0
	v_dual_cndmask_b32 v10, v10, v11 :: v_dual_min_i32 v9, v7, v8
	v_lshlrev_b32_e32 v8, 1, v4
	s_mov_b32 s0, exec_lo
	ds_store_b16 v3, v10
	; wave barrier
	v_cmpx_lt_i32_e64 v6, v9
	s_cbranch_execz .LBB28_12
; %bb.9:
	v_lshl_add_u32 v10, v7, 1, v8
	s_mov_b32 s1, 0
.LBB28_10:                              ; =>This Inner Loop Header: Depth=1
	v_sub_nc_u32_e32 v11, v9, v6
	s_delay_alu instid0(VALU_DEP_1) | instskip(NEXT) | instid1(VALU_DEP_1)
	v_lshrrev_b32_e32 v11, 1, v11
	v_add_nc_u32_e32 v11, v11, v6
	s_delay_alu instid0(VALU_DEP_1) | instskip(SKIP_1) | instid1(VALU_DEP_2)
	v_not_b32_e32 v12, v11
	v_lshl_add_u32 v13, v11, 1, v8
	v_lshl_add_u32 v12, v12, 1, v10
	ds_load_u16 v13, v13
	ds_load_u16 v12, v12 offset:8
	s_wait_dscnt 0x0
	v_cmp_lt_f16_e32 vcc_lo, v12, v13
	v_dual_cndmask_b32 v9, v9, v11 :: v_dual_add_nc_u32 v14, 1, v11
	s_delay_alu instid0(VALU_DEP_1) | instskip(NEXT) | instid1(VALU_DEP_1)
	v_cndmask_b32_e32 v6, v14, v6, vcc_lo
	v_cmp_ge_i32_e32 vcc_lo, v6, v9
	s_or_b32 s1, vcc_lo, s1
	s_delay_alu instid0(SALU_CYCLE_1)
	s_and_not1_b32 exec_lo, exec_lo, s1
	s_cbranch_execnz .LBB28_10
; %bb.11:
	s_or_b32 exec_lo, exec_lo, s1
.LBB28_12:
	s_delay_alu instid0(SALU_CYCLE_1) | instskip(SKIP_4) | instid1(VALU_DEP_4)
	s_or_b32 exec_lo, exec_lo, s0
	v_add_nc_u32_e32 v9, v4, v7
	v_lshl_add_u32 v8, v6, 1, v8
	v_add_nc_u32_e32 v5, v5, v7
	v_cmp_lt_i32_e32 vcc_lo, 3, v6
	v_dual_add_nc_u32 v7, 8, v4 :: v_dual_sub_nc_u32 v9, v9, v6
	s_delay_alu instid0(VALU_DEP_1) | instskip(SKIP_3) | instid1(VALU_DEP_1)
	v_lshlrev_b32_e32 v9, 1, v9
	ds_load_u16 v10, v8
	ds_load_u16 v11, v9 offset:8
	v_and_b32_e32 v8, 16, v2
	; wave barrier
	v_or_b32_e32 v4, 8, v8
	s_delay_alu instid0(VALU_DEP_1) | instskip(SKIP_1) | instid1(VALU_DEP_2)
	v_dual_sub_nc_u32 v12, v4, v8 :: v_dual_sub_nc_u32 v9, v5, v6
	v_and_b32_e32 v5, 15, v2
	v_cmp_gt_i32_e64 s1, v7, v9
	v_lshlrev_b32_e32 v7, 1, v8
	s_delay_alu instid0(VALU_DEP_3) | instskip(SKIP_4) | instid1(SALU_CYCLE_1)
	v_sub_nc_u32_e64 v6, v5, 8 clamp
	s_wait_dscnt 0x0
	v_cmp_lt_f16_e64 s0, v11, v10
	v_min_i32_e32 v9, v5, v12
	s_or_b32 s0, vcc_lo, s0
	s_and_b32 vcc_lo, s1, s0
	s_mov_b32 s0, exec_lo
	v_cndmask_b32_e32 v10, v10, v11, vcc_lo
	ds_store_b16 v3, v10
	; wave barrier
	v_cmpx_lt_i32_e64 v6, v9
	s_cbranch_execz .LBB28_16
; %bb.13:
	v_lshl_add_u32 v10, v5, 1, v7
	s_mov_b32 s1, 0
.LBB28_14:                              ; =>This Inner Loop Header: Depth=1
	v_sub_nc_u32_e32 v11, v9, v6
	s_delay_alu instid0(VALU_DEP_1) | instskip(NEXT) | instid1(VALU_DEP_1)
	v_lshrrev_b32_e32 v11, 1, v11
	v_add_nc_u32_e32 v11, v11, v6
	s_delay_alu instid0(VALU_DEP_1) | instskip(SKIP_1) | instid1(VALU_DEP_2)
	v_not_b32_e32 v12, v11
	v_lshl_add_u32 v13, v11, 1, v7
	v_lshl_add_u32 v12, v12, 1, v10
	ds_load_u16 v13, v13
	ds_load_u16 v12, v12 offset:16
	s_wait_dscnt 0x0
	v_cmp_lt_f16_e32 vcc_lo, v12, v13
	v_dual_cndmask_b32 v9, v9, v11 :: v_dual_add_nc_u32 v14, 1, v11
	s_delay_alu instid0(VALU_DEP_1) | instskip(NEXT) | instid1(VALU_DEP_1)
	v_cndmask_b32_e32 v6, v14, v6, vcc_lo
	v_cmp_ge_i32_e32 vcc_lo, v6, v9
	s_or_b32 s1, vcc_lo, s1
	s_delay_alu instid0(SALU_CYCLE_1)
	s_and_not1_b32 exec_lo, exec_lo, s1
	s_cbranch_execnz .LBB28_14
; %bb.15:
	s_or_b32 exec_lo, exec_lo, s1
.LBB28_16:
	s_delay_alu instid0(SALU_CYCLE_1) | instskip(SKIP_4) | instid1(VALU_DEP_3)
	s_or_b32 exec_lo, exec_lo, s0
	v_add_nc_u32_e32 v9, v8, v5
	v_dual_add_nc_u32 v4, v4, v5 :: v_dual_add_nc_u32 v5, 16, v8
	v_lshl_add_u32 v7, v6, 1, v7
	v_cmp_lt_i32_e32 vcc_lo, 7, v6
	v_dual_sub_nc_u32 v9, v9, v6 :: v_dual_sub_nc_u32 v4, v4, v6
	s_delay_alu instid0(VALU_DEP_1) | instskip(NEXT) | instid1(VALU_DEP_2)
	v_lshlrev_b32_e32 v9, 1, v9
	v_cmp_gt_i32_e64 s1, v5, v4
	v_sub_nc_u32_e64 v4, v2, 16 clamp
	v_min_u32_e32 v5, 16, v2
	ds_load_u16 v7, v7
	ds_load_u16 v9, v9 offset:16
	; wave barrier
	s_wait_dscnt 0x0
	v_cmp_lt_f16_e64 s0, v9, v7
	s_or_b32 s0, vcc_lo, s0
	s_delay_alu instid0(SALU_CYCLE_1)
	s_and_b32 vcc_lo, s1, s0
	s_mov_b32 s0, exec_lo
	v_cndmask_b32_e32 v6, v7, v9, vcc_lo
	ds_store_b16 v3, v6
	; wave barrier
	v_cmpx_lt_u32_e64 v4, v5
	s_cbranch_execz .LBB28_20
; %bb.17:
	s_mov_b32 s1, 0
.LBB28_18:                              ; =>This Inner Loop Header: Depth=1
	v_sub_nc_u32_e32 v6, v5, v4
	s_delay_alu instid0(VALU_DEP_1) | instskip(NEXT) | instid1(VALU_DEP_1)
	v_lshrrev_b32_e32 v6, 1, v6
	v_add_nc_u32_e32 v6, v6, v4
	s_delay_alu instid0(VALU_DEP_1) | instskip(SKIP_1) | instid1(VALU_DEP_2)
	v_not_b32_e32 v7, v6
	v_dual_lshlrev_b32 v8, 1, v6 :: v_dual_add_nc_u32 v9, 1, v6
	v_lshl_add_u32 v7, v7, 1, v3
	ds_load_u16 v8, v8
	ds_load_u16 v7, v7 offset:32
	s_wait_dscnt 0x0
	v_cmp_lt_f16_e32 vcc_lo, v7, v8
	v_cndmask_b32_e32 v5, v5, v6, vcc_lo
	v_cndmask_b32_e32 v4, v9, v4, vcc_lo
	s_delay_alu instid0(VALU_DEP_1) | instskip(SKIP_1) | instid1(SALU_CYCLE_1)
	v_cmp_ge_i32_e32 vcc_lo, v4, v5
	s_or_b32 s1, vcc_lo, s1
	s_and_not1_b32 exec_lo, exec_lo, s1
	s_cbranch_execnz .LBB28_18
; %bb.19:
	s_or_b32 exec_lo, exec_lo, s1
.LBB28_20:
	s_delay_alu instid0(SALU_CYCLE_1) | instskip(SKIP_2) | instid1(VALU_DEP_2)
	s_or_b32 exec_lo, exec_lo, s0
	v_dual_sub_nc_u32 v2, v2, v4 :: v_dual_lshlrev_b32 v3, 1, v4
	v_cmp_lt_i32_e32 vcc_lo, 15, v4
	v_dual_lshlrev_b32 v5, 1, v2 :: v_dual_add_nc_u32 v2, 16, v2
	ds_load_u16 v3, v3
	ds_load_u16 v5, v5 offset:32
	v_cmp_gt_i32_e64 s1, 32, v2
	s_wait_dscnt 0x0
	v_cmp_lt_f16_e64 s0, v5, v3
	s_or_b32 s0, vcc_lo, s0
	s_delay_alu instid0(SALU_CYCLE_1)
	s_and_b32 vcc_lo, s1, s0
	v_cndmask_b32_e32 v2, v3, v5, vcc_lo
	global_store_b16 v[0:1], v2, off
	s_endpgm
	.section	.rodata,"a",@progbits
	.p2align	6, 0x0
	.amdhsa_kernel _Z14sort_keys_fullILj32ELj32ELj1ELb0E6__halfN10test_utils4lessEEvPT3_T4_
		.amdhsa_group_segment_fixed_size 66
		.amdhsa_private_segment_fixed_size 0
		.amdhsa_kernarg_size 12
		.amdhsa_user_sgpr_count 2
		.amdhsa_user_sgpr_dispatch_ptr 0
		.amdhsa_user_sgpr_queue_ptr 0
		.amdhsa_user_sgpr_kernarg_segment_ptr 1
		.amdhsa_user_sgpr_dispatch_id 0
		.amdhsa_user_sgpr_kernarg_preload_length 0
		.amdhsa_user_sgpr_kernarg_preload_offset 0
		.amdhsa_user_sgpr_private_segment_size 0
		.amdhsa_wavefront_size32 1
		.amdhsa_uses_dynamic_stack 0
		.amdhsa_enable_private_segment 0
		.amdhsa_system_sgpr_workgroup_id_x 1
		.amdhsa_system_sgpr_workgroup_id_y 0
		.amdhsa_system_sgpr_workgroup_id_z 0
		.amdhsa_system_sgpr_workgroup_info 0
		.amdhsa_system_vgpr_workitem_id 0
		.amdhsa_next_free_vgpr 15
		.amdhsa_next_free_sgpr 6
		.amdhsa_named_barrier_count 0
		.amdhsa_reserve_vcc 1
		.amdhsa_float_round_mode_32 0
		.amdhsa_float_round_mode_16_64 0
		.amdhsa_float_denorm_mode_32 3
		.amdhsa_float_denorm_mode_16_64 3
		.amdhsa_fp16_overflow 0
		.amdhsa_memory_ordered 1
		.amdhsa_forward_progress 1
		.amdhsa_inst_pref_size 12
		.amdhsa_round_robin_scheduling 0
		.amdhsa_exception_fp_ieee_invalid_op 0
		.amdhsa_exception_fp_denorm_src 0
		.amdhsa_exception_fp_ieee_div_zero 0
		.amdhsa_exception_fp_ieee_overflow 0
		.amdhsa_exception_fp_ieee_underflow 0
		.amdhsa_exception_fp_ieee_inexact 0
		.amdhsa_exception_int_div_zero 0
	.end_amdhsa_kernel
	.section	.text._Z14sort_keys_fullILj32ELj32ELj1ELb0E6__halfN10test_utils4lessEEvPT3_T4_,"axG",@progbits,_Z14sort_keys_fullILj32ELj32ELj1ELb0E6__halfN10test_utils4lessEEvPT3_T4_,comdat
.Lfunc_end28:
	.size	_Z14sort_keys_fullILj32ELj32ELj1ELb0E6__halfN10test_utils4lessEEvPT3_T4_, .Lfunc_end28-_Z14sort_keys_fullILj32ELj32ELj1ELb0E6__halfN10test_utils4lessEEvPT3_T4_
                                        ; -- End function
	.set _Z14sort_keys_fullILj32ELj32ELj1ELb0E6__halfN10test_utils4lessEEvPT3_T4_.num_vgpr, 15
	.set _Z14sort_keys_fullILj32ELj32ELj1ELb0E6__halfN10test_utils4lessEEvPT3_T4_.num_agpr, 0
	.set _Z14sort_keys_fullILj32ELj32ELj1ELb0E6__halfN10test_utils4lessEEvPT3_T4_.numbered_sgpr, 6
	.set _Z14sort_keys_fullILj32ELj32ELj1ELb0E6__halfN10test_utils4lessEEvPT3_T4_.num_named_barrier, 0
	.set _Z14sort_keys_fullILj32ELj32ELj1ELb0E6__halfN10test_utils4lessEEvPT3_T4_.private_seg_size, 0
	.set _Z14sort_keys_fullILj32ELj32ELj1ELb0E6__halfN10test_utils4lessEEvPT3_T4_.uses_vcc, 1
	.set _Z14sort_keys_fullILj32ELj32ELj1ELb0E6__halfN10test_utils4lessEEvPT3_T4_.uses_flat_scratch, 0
	.set _Z14sort_keys_fullILj32ELj32ELj1ELb0E6__halfN10test_utils4lessEEvPT3_T4_.has_dyn_sized_stack, 0
	.set _Z14sort_keys_fullILj32ELj32ELj1ELb0E6__halfN10test_utils4lessEEvPT3_T4_.has_recursion, 0
	.set _Z14sort_keys_fullILj32ELj32ELj1ELb0E6__halfN10test_utils4lessEEvPT3_T4_.has_indirect_call, 0
	.section	.AMDGPU.csdata,"",@progbits
; Kernel info:
; codeLenInByte = 1524
; TotalNumSgprs: 8
; NumVgprs: 15
; ScratchSize: 0
; MemoryBound: 0
; FloatMode: 240
; IeeeMode: 1
; LDSByteSize: 66 bytes/workgroup (compile time only)
; SGPRBlocks: 0
; VGPRBlocks: 0
; NumSGPRsForWavesPerEU: 8
; NumVGPRsForWavesPerEU: 15
; NamedBarCnt: 0
; Occupancy: 16
; WaveLimiterHint : 0
; COMPUTE_PGM_RSRC2:SCRATCH_EN: 0
; COMPUTE_PGM_RSRC2:USER_SGPR: 2
; COMPUTE_PGM_RSRC2:TRAP_HANDLER: 0
; COMPUTE_PGM_RSRC2:TGID_X_EN: 1
; COMPUTE_PGM_RSRC2:TGID_Y_EN: 0
; COMPUTE_PGM_RSRC2:TGID_Z_EN: 0
; COMPUTE_PGM_RSRC2:TIDIG_COMP_CNT: 0
	.section	.text._Z14sort_keys_fullILj512ELj64ELj1ELb0EsN10test_utils4lessEEvPT3_T4_,"axG",@progbits,_Z14sort_keys_fullILj512ELj64ELj1ELb0EsN10test_utils4lessEEvPT3_T4_,comdat
	.protected	_Z14sort_keys_fullILj512ELj64ELj1ELb0EsN10test_utils4lessEEvPT3_T4_ ; -- Begin function _Z14sort_keys_fullILj512ELj64ELj1ELb0EsN10test_utils4lessEEvPT3_T4_
	.globl	_Z14sort_keys_fullILj512ELj64ELj1ELb0EsN10test_utils4lessEEvPT3_T4_
	.p2align	8
	.type	_Z14sort_keys_fullILj512ELj64ELj1ELb0EsN10test_utils4lessEEvPT3_T4_,@function
_Z14sort_keys_fullILj512ELj64ELj1ELb0EsN10test_utils4lessEEvPT3_T4_: ; @_Z14sort_keys_fullILj512ELj64ELj1ELb0EsN10test_utils4lessEEvPT3_T4_
; %bb.0:
	s_load_b64 s[0:1], s[0:1], 0x0
	s_bfe_u32 s2, ttmp6, 0x4000c
	s_and_b32 s3, ttmp6, 15
	s_add_co_i32 s2, s2, 1
	s_getreg_b32 s4, hwreg(HW_REG_IB_STS2, 6, 4)
	s_mul_i32 s2, ttmp9, s2
	v_mbcnt_lo_u32_b32 v4, -1, 0
	s_add_co_i32 s3, s3, s2
	s_cmp_eq_u32 s4, 0
	v_mov_b32_e32 v3, 0
	s_cselect_b32 s2, ttmp9, s3
	s_mov_b32 s3, 0
	s_lshl_b32 s2, s2, 9
	v_and_b32_e32 v11, 30, v4
	s_lshl_b64 s[4:5], s[2:3], 1
	v_lshlrev_b32_e32 v2, 1, v0
	v_lshlrev_b32_e32 v6, 1, v4
	s_mov_b32 s2, exec_lo
	v_or_b32_e32 v8, 1, v11
	v_and_b32_e32 v9, 1, v4
	s_wait_kmcnt 0x0
	s_add_nc_u64 s[0:1], s[0:1], s[4:5]
	v_lshlrev_b32_e32 v13, 1, v11
	global_load_u16 v1, v0, s[0:1] scale_offset
	v_dual_sub_nc_u32 v5, v8, v11 :: v_dual_lshrrev_b32 v10, 6, v0
	s_wait_xcnt 0x0
	v_add_nc_u32_e32 v0, -1, v9
	v_cmp_lt_i32_e32 vcc_lo, 0, v9
	; wave barrier
	s_delay_alu instid0(VALU_DEP_3) | instskip(NEXT) | instid1(VALU_DEP_3)
	v_mad_u32_u24 v7, 0x82, v10, v6
	v_dual_cndmask_b32 v12, 0, v0, vcc_lo :: v_dual_min_i32 v0, v9, v5
	v_mul_u32_u24_e32 v5, 0x82, v10
	v_mad_u32_u24 v10, 0x82, v10, v13
	s_wait_loadcnt 0x0
	ds_store_b16 v7, v1
	; wave barrier
	v_cmpx_lt_i32_e64 v12, v0
	s_cbranch_execz .LBB29_4
; %bb.1:
	v_dual_lshlrev_b32 v1, 1, v8 :: v_dual_lshlrev_b32 v13, 1, v9
	s_delay_alu instid0(VALU_DEP_1)
	v_add3_u32 v1, v5, v1, v13
.LBB29_2:                               ; =>This Inner Loop Header: Depth=1
	v_sub_nc_u32_e32 v13, v0, v12
	s_delay_alu instid0(VALU_DEP_1) | instskip(NEXT) | instid1(VALU_DEP_1)
	v_lshrrev_b32_e32 v13, 1, v13
	v_add_nc_u32_e32 v13, v13, v12
	s_delay_alu instid0(VALU_DEP_1) | instskip(SKIP_1) | instid1(VALU_DEP_2)
	v_not_b32_e32 v14, v13
	v_lshl_add_u32 v15, v13, 1, v10
	v_lshl_add_u32 v14, v14, 1, v1
	ds_load_u16 v15, v15
	ds_load_u16 v14, v14
	s_wait_dscnt 0x0
	v_cmp_lt_i16_e32 vcc_lo, v14, v15
	v_dual_add_nc_u32 v16, 1, v13 :: v_dual_cndmask_b32 v0, v0, v13, vcc_lo
	s_delay_alu instid0(VALU_DEP_1) | instskip(NEXT) | instid1(VALU_DEP_1)
	v_cndmask_b32_e32 v12, v16, v12, vcc_lo
	v_cmp_ge_i32_e32 vcc_lo, v12, v0
	s_or_b32 s3, vcc_lo, s3
	s_delay_alu instid0(SALU_CYCLE_1)
	s_and_not1_b32 exec_lo, exec_lo, s3
	s_cbranch_execnz .LBB29_2
; %bb.3:
	s_or_b32 exec_lo, exec_lo, s3
.LBB29_4:
	s_delay_alu instid0(SALU_CYCLE_1) | instskip(SKIP_3) | instid1(VALU_DEP_1)
	s_or_b32 exec_lo, exec_lo, s2
	v_add_nc_u64_e32 v[0:1], s[0:1], v[2:3]
	v_add_nc_u32_e32 v2, v8, v9
	s_mov_b32 s2, 0
	v_dual_add_nc_u32 v11, v12, v11 :: v_dual_sub_nc_u32 v13, v2, v12
	v_lshl_add_u32 v2, v12, 1, v10
	v_and_b32_e32 v10, 28, v4
	s_delay_alu instid0(VALU_DEP_3) | instskip(NEXT) | instid1(VALU_DEP_2)
	v_cmp_le_i32_e32 vcc_lo, v8, v11
	v_or_b32_e32 v9, 2, v10
	v_lshl_add_u32 v3, v13, 1, v5
	ds_load_u16 v14, v2
	ds_load_u16 v15, v3
	v_dual_add_nc_u32 v2, 4, v10 :: v_dual_bitop2_b32 v3, 3, v4 bitop3:0x40
	v_cmp_ge_i32_e64 s1, v8, v13
	v_lshl_add_u32 v8, v10, 1, v5
	s_delay_alu instid0(VALU_DEP_3) | instskip(NEXT) | instid1(VALU_DEP_1)
	v_dual_sub_nc_u32 v12, v2, v9 :: v_dual_sub_nc_u32 v11, v9, v10
	; wave barrier
	v_sub_nc_u32_e32 v16, v3, v12
	s_wait_dscnt 0x0
	v_cmp_lt_i16_e64 s0, v15, v14
	s_or_b32 s0, vcc_lo, s0
	v_cmp_ge_i32_e32 vcc_lo, v3, v12
	v_dual_cndmask_b32 v12, 0, v16 :: v_dual_min_i32 v11, v3, v11
	s_and_b32 vcc_lo, s1, s0
	s_mov_b32 s0, exec_lo
	v_cndmask_b32_e32 v13, v14, v15, vcc_lo
	ds_store_b16 v7, v13
	; wave barrier
	v_cmpx_lt_i32_e64 v12, v11
	s_cbranch_execz .LBB29_8
; %bb.5:
	v_dual_lshlrev_b32 v13, 1, v9 :: v_dual_lshlrev_b32 v14, 1, v3
	s_delay_alu instid0(VALU_DEP_1)
	v_add3_u32 v13, v5, v13, v14
.LBB29_6:                               ; =>This Inner Loop Header: Depth=1
	v_sub_nc_u32_e32 v14, v11, v12
	s_delay_alu instid0(VALU_DEP_1) | instskip(NEXT) | instid1(VALU_DEP_1)
	v_lshrrev_b32_e32 v14, 1, v14
	v_add_nc_u32_e32 v14, v14, v12
	s_delay_alu instid0(VALU_DEP_1) | instskip(SKIP_1) | instid1(VALU_DEP_2)
	v_not_b32_e32 v15, v14
	v_lshl_add_u32 v16, v14, 1, v8
	v_lshl_add_u32 v15, v15, 1, v13
	ds_load_u16 v16, v16
	ds_load_u16 v15, v15
	s_wait_dscnt 0x0
	v_cmp_lt_i16_e32 vcc_lo, v15, v16
	v_dual_add_nc_u32 v17, 1, v14 :: v_dual_cndmask_b32 v11, v11, v14, vcc_lo
	s_delay_alu instid0(VALU_DEP_1) | instskip(NEXT) | instid1(VALU_DEP_1)
	v_cndmask_b32_e32 v12, v17, v12, vcc_lo
	v_cmp_ge_i32_e32 vcc_lo, v12, v11
	s_or_b32 s2, vcc_lo, s2
	s_delay_alu instid0(SALU_CYCLE_1)
	s_and_not1_b32 exec_lo, exec_lo, s2
	s_cbranch_execnz .LBB29_6
; %bb.7:
	s_or_b32 exec_lo, exec_lo, s2
.LBB29_8:
	s_delay_alu instid0(SALU_CYCLE_1) | instskip(SKIP_2) | instid1(VALU_DEP_1)
	s_or_b32 exec_lo, exec_lo, s0
	v_dual_add_nc_u32 v3, v9, v3 :: v_dual_bitop2_b32 v11, 24, v4 bitop3:0x40
	s_mov_b32 s2, 0
	v_sub_nc_u32_e32 v13, v3, v12
	v_lshl_add_u32 v3, v12, 1, v8
	v_add_nc_u32_e32 v12, v12, v10
	s_delay_alu instid0(VALU_DEP_3)
	v_lshl_add_u32 v8, v13, 1, v5
	ds_load_u16 v14, v3
	ds_load_u16 v15, v8
	v_dual_add_nc_u32 v3, 8, v11 :: v_dual_bitop2_b32 v8, 4, v11 bitop3:0x54
	v_and_b32_e32 v10, 7, v4
	v_cmp_gt_i32_e64 s1, v2, v13
	v_cmp_le_i32_e32 vcc_lo, v9, v12
	s_delay_alu instid0(VALU_DEP_4) | instskip(SKIP_1) | instid1(VALU_DEP_2)
	v_dual_sub_nc_u32 v9, v8, v11 :: v_dual_sub_nc_u32 v16, v3, v8
	v_lshl_add_u32 v2, v11, 1, v5
	; wave barrier
	v_dual_sub_nc_u32 v12, v10, v16 :: v_dual_min_i32 v9, v10, v9
	s_wait_dscnt 0x0
	v_cmp_lt_i16_e64 s0, v15, v14
	s_or_b32 s0, vcc_lo, s0
	v_cmp_ge_i32_e32 vcc_lo, v10, v16
	v_cndmask_b32_e32 v12, 0, v12, vcc_lo
	s_and_b32 vcc_lo, s1, s0
	s_mov_b32 s0, exec_lo
	v_cndmask_b32_e32 v13, v14, v15, vcc_lo
	ds_store_b16 v7, v13
	; wave barrier
	v_cmpx_lt_i32_e64 v12, v9
	s_cbranch_execz .LBB29_12
; %bb.9:
	v_dual_lshlrev_b32 v13, 1, v8 :: v_dual_lshlrev_b32 v14, 1, v10
	s_delay_alu instid0(VALU_DEP_1)
	v_add3_u32 v13, v5, v13, v14
.LBB29_10:                              ; =>This Inner Loop Header: Depth=1
	v_sub_nc_u32_e32 v14, v9, v12
	s_delay_alu instid0(VALU_DEP_1) | instskip(NEXT) | instid1(VALU_DEP_1)
	v_lshrrev_b32_e32 v14, 1, v14
	v_add_nc_u32_e32 v14, v14, v12
	s_delay_alu instid0(VALU_DEP_1) | instskip(SKIP_1) | instid1(VALU_DEP_2)
	v_not_b32_e32 v15, v14
	v_lshl_add_u32 v16, v14, 1, v2
	v_lshl_add_u32 v15, v15, 1, v13
	ds_load_u16 v16, v16
	ds_load_u16 v15, v15
	s_wait_dscnt 0x0
	v_cmp_lt_i16_e32 vcc_lo, v15, v16
	v_dual_add_nc_u32 v17, 1, v14 :: v_dual_cndmask_b32 v9, v9, v14, vcc_lo
	s_delay_alu instid0(VALU_DEP_1) | instskip(NEXT) | instid1(VALU_DEP_1)
	v_cndmask_b32_e32 v12, v17, v12, vcc_lo
	v_cmp_ge_i32_e32 vcc_lo, v12, v9
	s_or_b32 s2, vcc_lo, s2
	s_delay_alu instid0(SALU_CYCLE_1)
	s_and_not1_b32 exec_lo, exec_lo, s2
	s_cbranch_execnz .LBB29_10
; %bb.11:
	s_or_b32 exec_lo, exec_lo, s2
.LBB29_12:
	s_delay_alu instid0(SALU_CYCLE_1) | instskip(SKIP_3) | instid1(VALU_DEP_2)
	s_or_b32 exec_lo, exec_lo, s0
	v_dual_add_nc_u32 v9, v8, v10 :: v_dual_bitop2_b32 v10, 16, v4 bitop3:0x40
	v_lshl_add_u32 v2, v12, 1, v2
	s_mov_b32 s2, 0
	v_dual_sub_nc_u32 v13, v9, v12 :: v_dual_add_nc_u32 v12, v12, v11
	s_delay_alu instid0(VALU_DEP_1)
	v_lshl_add_u32 v9, v13, 1, v5
	ds_load_u16 v14, v2
	ds_load_u16 v15, v9
	v_dual_add_nc_u32 v2, 16, v10 :: v_dual_bitop2_b32 v9, 8, v10 bitop3:0x54
	v_and_b32_e32 v11, 15, v4
	v_cmp_gt_i32_e64 s1, v3, v13
	v_cmp_le_i32_e32 vcc_lo, v8, v12
	s_delay_alu instid0(VALU_DEP_4) | instskip(NEXT) | instid1(VALU_DEP_1)
	v_dual_sub_nc_u32 v16, v2, v9 :: v_dual_sub_nc_u32 v8, v9, v10
	; wave barrier
	v_sub_nc_u32_e32 v17, v11, v16
	s_wait_dscnt 0x0
	v_cmp_lt_i16_e64 s0, v15, v14
	s_or_b32 s0, vcc_lo, s0
	v_cmp_ge_i32_e32 vcc_lo, v11, v16
	v_min_i32_e32 v12, v11, v8
	v_lshl_add_u32 v8, v10, 1, v5
	v_cndmask_b32_e32 v3, 0, v17, vcc_lo
	s_and_b32 vcc_lo, s1, s0
	s_mov_b32 s0, exec_lo
	v_cndmask_b32_e32 v13, v14, v15, vcc_lo
	ds_store_b16 v7, v13
	; wave barrier
	v_cmpx_lt_i32_e64 v3, v12
	s_cbranch_execz .LBB29_16
; %bb.13:
	v_dual_lshlrev_b32 v13, 1, v9 :: v_dual_lshlrev_b32 v14, 1, v11
	s_delay_alu instid0(VALU_DEP_1)
	v_add3_u32 v13, v5, v13, v14
.LBB29_14:                              ; =>This Inner Loop Header: Depth=1
	v_sub_nc_u32_e32 v14, v12, v3
	s_delay_alu instid0(VALU_DEP_1) | instskip(NEXT) | instid1(VALU_DEP_1)
	v_lshrrev_b32_e32 v14, 1, v14
	v_add_nc_u32_e32 v14, v14, v3
	s_delay_alu instid0(VALU_DEP_1) | instskip(SKIP_1) | instid1(VALU_DEP_2)
	v_not_b32_e32 v15, v14
	v_lshl_add_u32 v16, v14, 1, v8
	v_lshl_add_u32 v15, v15, 1, v13
	ds_load_u16 v16, v16
	ds_load_u16 v15, v15
	s_wait_dscnt 0x0
	v_cmp_lt_i16_e32 vcc_lo, v15, v16
	v_dual_cndmask_b32 v12, v12, v14 :: v_dual_add_nc_u32 v17, 1, v14
	s_delay_alu instid0(VALU_DEP_1) | instskip(NEXT) | instid1(VALU_DEP_1)
	v_cndmask_b32_e32 v3, v17, v3, vcc_lo
	v_cmp_ge_i32_e32 vcc_lo, v3, v12
	s_or_b32 s2, vcc_lo, s2
	s_delay_alu instid0(SALU_CYCLE_1)
	s_and_not1_b32 exec_lo, exec_lo, s2
	s_cbranch_execnz .LBB29_14
; %bb.15:
	s_or_b32 exec_lo, exec_lo, s2
.LBB29_16:
	s_delay_alu instid0(SALU_CYCLE_1) | instskip(SKIP_3) | instid1(VALU_DEP_3)
	s_or_b32 exec_lo, exec_lo, s0
	v_add_nc_u32_e32 v11, v9, v11
	v_lshl_add_u32 v8, v3, 1, v8
	v_cmp_lt_i32_e64 s2, 15, v4
	v_sub_nc_u32_e32 v11, v11, v3
	v_dual_add_nc_u32 v3, v3, v10 :: v_dual_add_nc_u32 v10, -16, v4
	s_delay_alu instid0(VALU_DEP_2) | instskip(NEXT) | instid1(VALU_DEP_2)
	v_lshl_add_u32 v12, v11, 1, v5
	v_cmp_le_i32_e32 vcc_lo, v9, v3
	v_cmp_gt_i32_e64 s1, v2, v11
	s_delay_alu instid0(VALU_DEP_4)
	v_dual_cndmask_b32 v2, 0, v10, s2 :: v_dual_min_i32 v3, 16, v4
	ds_load_u16 v8, v8
	ds_load_u16 v12, v12
	; wave barrier
	s_wait_dscnt 0x0
	v_cmp_lt_i16_e64 s0, v12, v8
	s_or_b32 s0, vcc_lo, s0
	s_delay_alu instid0(SALU_CYCLE_1)
	s_and_b32 vcc_lo, s1, s0
	s_mov_b32 s0, exec_lo
	v_cndmask_b32_e32 v8, v8, v12, vcc_lo
	ds_store_b16 v7, v8
	; wave barrier
	v_cmpx_lt_i32_e64 v2, v3
	s_cbranch_execz .LBB29_20
; %bb.17:
	v_add3_u32 v8, v5, 32, v6
	s_mov_b32 s1, 0
.LBB29_18:                              ; =>This Inner Loop Header: Depth=1
	v_sub_nc_u32_e32 v9, v3, v2
	s_delay_alu instid0(VALU_DEP_1) | instskip(NEXT) | instid1(VALU_DEP_1)
	v_lshrrev_b32_e32 v9, 1, v9
	v_add_nc_u32_e32 v9, v9, v2
	s_delay_alu instid0(VALU_DEP_1) | instskip(SKIP_1) | instid1(VALU_DEP_2)
	v_not_b32_e32 v10, v9
	v_lshl_add_u32 v11, v9, 1, v5
	v_lshl_add_u32 v10, v10, 1, v8
	ds_load_u16 v11, v11
	ds_load_u16 v10, v10
	s_wait_dscnt 0x0
	v_cmp_lt_i16_e32 vcc_lo, v10, v11
	v_dual_cndmask_b32 v3, v3, v9 :: v_dual_add_nc_u32 v12, 1, v9
	s_delay_alu instid0(VALU_DEP_1) | instskip(NEXT) | instid1(VALU_DEP_1)
	v_cndmask_b32_e32 v2, v12, v2, vcc_lo
	v_cmp_ge_i32_e32 vcc_lo, v2, v3
	s_or_b32 s1, vcc_lo, s1
	s_delay_alu instid0(SALU_CYCLE_1)
	s_and_not1_b32 exec_lo, exec_lo, s1
	s_cbranch_execnz .LBB29_18
; %bb.19:
	s_or_b32 exec_lo, exec_lo, s1
.LBB29_20:
	s_delay_alu instid0(SALU_CYCLE_1) | instskip(SKIP_4) | instid1(VALU_DEP_3)
	s_or_b32 exec_lo, exec_lo, s0
	v_cmp_lt_i32_e64 s2, 31, v4
	v_add_nc_u32_e32 v3, 16, v4
	v_lshl_add_u32 v8, v2, 1, v5
	v_cmp_le_i32_e32 vcc_lo, 16, v2
	v_sub_nc_u32_e32 v3, v3, v2
	v_or_b32_e32 v2, 0xffffffe0, v4
	s_delay_alu instid0(VALU_DEP_2) | instskip(SKIP_1) | instid1(VALU_DEP_3)
	v_lshl_add_u32 v9, v3, 1, v5
	v_cmp_gt_i32_e64 s1, 32, v3
	v_cndmask_b32_e64 v2, 0, v2, s2
	ds_load_u16 v8, v8
	ds_load_u16 v9, v9
	; wave barrier
	s_wait_dscnt 0x0
	v_cmp_lt_i16_e64 s0, v9, v8
	s_or_b32 s0, vcc_lo, s0
	s_delay_alu instid0(SALU_CYCLE_1)
	s_and_b32 vcc_lo, s1, s0
	s_mov_b32 s0, exec_lo
	v_cndmask_b32_e32 v3, v8, v9, vcc_lo
	ds_store_b16 v7, v3
	; wave barrier
	v_cmpx_lt_i32_e64 v2, v4
	s_cbranch_execz .LBB29_24
; %bb.21:
	v_add3_u32 v3, v5, 64, v6
	v_mov_b32_e32 v6, v4
	s_mov_b32 s1, 0
.LBB29_22:                              ; =>This Inner Loop Header: Depth=1
	s_delay_alu instid0(VALU_DEP_1) | instskip(NEXT) | instid1(VALU_DEP_1)
	v_sub_nc_u32_e32 v7, v6, v2
	v_lshrrev_b32_e32 v7, 1, v7
	s_delay_alu instid0(VALU_DEP_1) | instskip(NEXT) | instid1(VALU_DEP_1)
	v_add_nc_u32_e32 v7, v7, v2
	v_not_b32_e32 v8, v7
	v_lshl_add_u32 v9, v7, 1, v5
	s_delay_alu instid0(VALU_DEP_2)
	v_lshl_add_u32 v8, v8, 1, v3
	ds_load_u16 v9, v9
	ds_load_u16 v8, v8
	s_wait_dscnt 0x0
	v_cmp_lt_i16_e32 vcc_lo, v8, v9
	v_dual_add_nc_u32 v10, 1, v7 :: v_dual_cndmask_b32 v6, v6, v7, vcc_lo
	s_delay_alu instid0(VALU_DEP_1) | instskip(NEXT) | instid1(VALU_DEP_1)
	v_cndmask_b32_e32 v2, v10, v2, vcc_lo
	v_cmp_ge_i32_e32 vcc_lo, v2, v6
	s_or_b32 s1, vcc_lo, s1
	s_delay_alu instid0(SALU_CYCLE_1)
	s_and_not1_b32 exec_lo, exec_lo, s1
	s_cbranch_execnz .LBB29_22
; %bb.23:
	s_or_b32 exec_lo, exec_lo, s1
.LBB29_24:
	s_delay_alu instid0(SALU_CYCLE_1) | instskip(SKIP_3) | instid1(VALU_DEP_3)
	s_or_b32 exec_lo, exec_lo, s0
	v_add_nc_u32_e32 v3, 32, v4
	v_lshl_add_u32 v4, v2, 1, v5
	v_cmp_le_i32_e32 vcc_lo, 32, v2
	v_sub_nc_u32_e32 v3, v3, v2
	s_delay_alu instid0(VALU_DEP_1)
	v_lshl_add_u32 v5, v3, 1, v5
	v_cmp_gt_i32_e64 s1, 64, v3
	ds_load_u16 v4, v4
	ds_load_u16 v5, v5
	s_wait_dscnt 0x0
	v_cmp_lt_i16_e64 s0, v5, v4
	s_or_b32 s0, vcc_lo, s0
	s_delay_alu instid0(SALU_CYCLE_1)
	s_and_b32 vcc_lo, s1, s0
	v_cndmask_b32_e32 v2, v4, v5, vcc_lo
	global_store_b16 v[0:1], v2, off
	s_endpgm
	.section	.rodata,"a",@progbits
	.p2align	6, 0x0
	.amdhsa_kernel _Z14sort_keys_fullILj512ELj64ELj1ELb0EsN10test_utils4lessEEvPT3_T4_
		.amdhsa_group_segment_fixed_size 1040
		.amdhsa_private_segment_fixed_size 0
		.amdhsa_kernarg_size 12
		.amdhsa_user_sgpr_count 2
		.amdhsa_user_sgpr_dispatch_ptr 0
		.amdhsa_user_sgpr_queue_ptr 0
		.amdhsa_user_sgpr_kernarg_segment_ptr 1
		.amdhsa_user_sgpr_dispatch_id 0
		.amdhsa_user_sgpr_kernarg_preload_length 0
		.amdhsa_user_sgpr_kernarg_preload_offset 0
		.amdhsa_user_sgpr_private_segment_size 0
		.amdhsa_wavefront_size32 1
		.amdhsa_uses_dynamic_stack 0
		.amdhsa_enable_private_segment 0
		.amdhsa_system_sgpr_workgroup_id_x 1
		.amdhsa_system_sgpr_workgroup_id_y 0
		.amdhsa_system_sgpr_workgroup_id_z 0
		.amdhsa_system_sgpr_workgroup_info 0
		.amdhsa_system_vgpr_workitem_id 0
		.amdhsa_next_free_vgpr 18
		.amdhsa_next_free_sgpr 6
		.amdhsa_named_barrier_count 0
		.amdhsa_reserve_vcc 1
		.amdhsa_float_round_mode_32 0
		.amdhsa_float_round_mode_16_64 0
		.amdhsa_float_denorm_mode_32 3
		.amdhsa_float_denorm_mode_16_64 3
		.amdhsa_fp16_overflow 0
		.amdhsa_memory_ordered 1
		.amdhsa_forward_progress 1
		.amdhsa_inst_pref_size 16
		.amdhsa_round_robin_scheduling 0
		.amdhsa_exception_fp_ieee_invalid_op 0
		.amdhsa_exception_fp_denorm_src 0
		.amdhsa_exception_fp_ieee_div_zero 0
		.amdhsa_exception_fp_ieee_overflow 0
		.amdhsa_exception_fp_ieee_underflow 0
		.amdhsa_exception_fp_ieee_inexact 0
		.amdhsa_exception_int_div_zero 0
	.end_amdhsa_kernel
	.section	.text._Z14sort_keys_fullILj512ELj64ELj1ELb0EsN10test_utils4lessEEvPT3_T4_,"axG",@progbits,_Z14sort_keys_fullILj512ELj64ELj1ELb0EsN10test_utils4lessEEvPT3_T4_,comdat
.Lfunc_end29:
	.size	_Z14sort_keys_fullILj512ELj64ELj1ELb0EsN10test_utils4lessEEvPT3_T4_, .Lfunc_end29-_Z14sort_keys_fullILj512ELj64ELj1ELb0EsN10test_utils4lessEEvPT3_T4_
                                        ; -- End function
	.set _Z14sort_keys_fullILj512ELj64ELj1ELb0EsN10test_utils4lessEEvPT3_T4_.num_vgpr, 18
	.set _Z14sort_keys_fullILj512ELj64ELj1ELb0EsN10test_utils4lessEEvPT3_T4_.num_agpr, 0
	.set _Z14sort_keys_fullILj512ELj64ELj1ELb0EsN10test_utils4lessEEvPT3_T4_.numbered_sgpr, 6
	.set _Z14sort_keys_fullILj512ELj64ELj1ELb0EsN10test_utils4lessEEvPT3_T4_.num_named_barrier, 0
	.set _Z14sort_keys_fullILj512ELj64ELj1ELb0EsN10test_utils4lessEEvPT3_T4_.private_seg_size, 0
	.set _Z14sort_keys_fullILj512ELj64ELj1ELb0EsN10test_utils4lessEEvPT3_T4_.uses_vcc, 1
	.set _Z14sort_keys_fullILj512ELj64ELj1ELb0EsN10test_utils4lessEEvPT3_T4_.uses_flat_scratch, 0
	.set _Z14sort_keys_fullILj512ELj64ELj1ELb0EsN10test_utils4lessEEvPT3_T4_.has_dyn_sized_stack, 0
	.set _Z14sort_keys_fullILj512ELj64ELj1ELb0EsN10test_utils4lessEEvPT3_T4_.has_recursion, 0
	.set _Z14sort_keys_fullILj512ELj64ELj1ELb0EsN10test_utils4lessEEvPT3_T4_.has_indirect_call, 0
	.section	.AMDGPU.csdata,"",@progbits
; Kernel info:
; codeLenInByte = 1944
; TotalNumSgprs: 8
; NumVgprs: 18
; ScratchSize: 0
; MemoryBound: 0
; FloatMode: 240
; IeeeMode: 1
; LDSByteSize: 1040 bytes/workgroup (compile time only)
; SGPRBlocks: 0
; VGPRBlocks: 1
; NumSGPRsForWavesPerEU: 8
; NumVGPRsForWavesPerEU: 18
; NamedBarCnt: 0
; Occupancy: 16
; WaveLimiterHint : 0
; COMPUTE_PGM_RSRC2:SCRATCH_EN: 0
; COMPUTE_PGM_RSRC2:USER_SGPR: 2
; COMPUTE_PGM_RSRC2:TRAP_HANDLER: 0
; COMPUTE_PGM_RSRC2:TGID_X_EN: 1
; COMPUTE_PGM_RSRC2:TGID_Y_EN: 0
; COMPUTE_PGM_RSRC2:TGID_Z_EN: 0
; COMPUTE_PGM_RSRC2:TIDIG_COMP_CNT: 0
	.section	.text._Z14sort_keys_fullILj32ELj32ELj1ELb0EdN10test_utils4lessEEvPT3_T4_,"axG",@progbits,_Z14sort_keys_fullILj32ELj32ELj1ELb0EdN10test_utils4lessEEvPT3_T4_,comdat
	.protected	_Z14sort_keys_fullILj32ELj32ELj1ELb0EdN10test_utils4lessEEvPT3_T4_ ; -- Begin function _Z14sort_keys_fullILj32ELj32ELj1ELb0EdN10test_utils4lessEEvPT3_T4_
	.globl	_Z14sort_keys_fullILj32ELj32ELj1ELb0EdN10test_utils4lessEEvPT3_T4_
	.p2align	8
	.type	_Z14sort_keys_fullILj32ELj32ELj1ELb0EdN10test_utils4lessEEvPT3_T4_,@function
_Z14sort_keys_fullILj32ELj32ELj1ELb0EdN10test_utils4lessEEvPT3_T4_: ; @_Z14sort_keys_fullILj32ELj32ELj1ELb0EdN10test_utils4lessEEvPT3_T4_
; %bb.0:
	s_load_b64 s[0:1], s[0:1], 0x0
	s_bfe_u32 s2, ttmp6, 0x4000c
	s_and_b32 s3, ttmp6, 15
	s_add_co_i32 s2, s2, 1
	s_getreg_b32 s4, hwreg(HW_REG_IB_STS2, 6, 4)
	s_mul_i32 s2, ttmp9, s2
	v_mbcnt_lo_u32_b32 v2, -1, 0
	s_add_co_i32 s3, s3, s2
	s_cmp_eq_u32 s4, 0
	v_mov_b32_e32 v1, 0
	s_cselect_b32 s2, ttmp9, s3
	s_mov_b32 s3, 0
	s_lshl_b32 s2, s2, 5
	v_and_b32_e32 v5, 30, v2
	s_lshl_b64 s[4:5], s[2:3], 3
	v_mov_b32_e32 v7, v1
	s_mov_b32 s2, exec_lo
	s_delay_alu instid0(VALU_DEP_2)
	v_dual_lshlrev_b32 v8, 3, v5 :: v_dual_bitop2_b32 v4, 1, v5 bitop3:0x54
	s_wait_kmcnt 0x0
	s_add_nc_u64 s[0:1], s[0:1], s[4:5]
	global_load_b64 v[10:11], v0, s[0:1] scale_offset
	s_wait_xcnt 0x0
	v_dual_lshlrev_b32 v0, 3, v0 :: v_dual_bitop2_b32 v6, 1, v2 bitop3:0x40
	v_sub_nc_u32_e32 v3, v4, v5
	; wave barrier
	s_delay_alu instid0(VALU_DEP_1)
	v_dual_lshlrev_b32 v3, 3, v2 :: v_dual_min_i32 v9, v6, v3
	s_wait_loadcnt 0x0
	ds_store_b64 v3, v[10:11]
	; wave barrier
	v_cmpx_lt_i32_e32 0, v9
	s_cbranch_execz .LBB30_4
; %bb.1:
	v_lshl_add_u32 v9, v6, 3, v8
	v_dual_mov_b32 v10, 1 :: v_dual_mov_b32 v7, v1
.LBB30_2:                               ; =>This Inner Loop Header: Depth=1
	s_delay_alu instid0(VALU_DEP_1) | instskip(NEXT) | instid1(VALU_DEP_1)
	v_sub_nc_u32_e32 v11, v10, v7
	v_lshrrev_b32_e32 v11, 1, v11
	s_delay_alu instid0(VALU_DEP_1) | instskip(NEXT) | instid1(VALU_DEP_1)
	v_add_nc_u32_e32 v11, v11, v7
	v_not_b32_e32 v12, v11
	v_lshl_add_u32 v13, v11, 3, v8
	s_delay_alu instid0(VALU_DEP_2)
	v_lshl_add_u32 v14, v12, 3, v9
	ds_load_b64 v[12:13], v13
	ds_load_b64 v[14:15], v14 offset:8
	s_wait_dscnt 0x0
	v_cmp_lt_f64_e32 vcc_lo, v[14:15], v[12:13]
	v_dual_add_nc_u32 v12, 1, v11 :: v_dual_cndmask_b32 v10, v10, v11, vcc_lo
	s_delay_alu instid0(VALU_DEP_1) | instskip(NEXT) | instid1(VALU_DEP_1)
	v_cndmask_b32_e32 v7, v12, v7, vcc_lo
	v_cmp_ge_i32_e32 vcc_lo, v7, v10
	s_or_b32 s3, vcc_lo, s3
	s_delay_alu instid0(SALU_CYCLE_1)
	s_and_not1_b32 exec_lo, exec_lo, s3
	s_cbranch_execnz .LBB30_2
; %bb.3:
	s_or_b32 exec_lo, exec_lo, s3
.LBB30_4:
	s_delay_alu instid0(SALU_CYCLE_1)
	s_or_b32 exec_lo, exec_lo, s2
	v_add_nc_u32_e32 v5, v5, v6
	v_lshl_add_u32 v8, v7, 3, v8
	v_add_nc_u64_e32 v[0:1], s[0:1], v[0:1]
	v_cmp_lt_i32_e64 s0, 0, v7
	s_mov_b32 s2, 0
	v_sub_nc_u32_e32 v5, v5, v7
	s_delay_alu instid0(VALU_DEP_1) | instskip(SKIP_3) | instid1(VALU_DEP_1)
	v_lshlrev_b32_e32 v5, 3, v5
	ds_load_b64 v[10:11], v8
	ds_load_b64 v[12:13], v5 offset:8
	v_add_nc_u32_e32 v8, v4, v6
	; wave barrier
	v_dual_sub_nc_u32 v9, v8, v7 :: v_dual_bitop2_b32 v8, 3, v2 bitop3:0x40
	s_delay_alu instid0(VALU_DEP_1) | instskip(NEXT) | instid1(VALU_DEP_2)
	v_cmp_ge_i32_e64 s1, v4, v9
	v_sub_nc_u32_e64 v7, v8, 2 clamp
	s_wait_dscnt 0x0
	v_cmp_lt_f64_e32 vcc_lo, v[12:13], v[10:11]
	s_or_b32 s0, s0, vcc_lo
	s_delay_alu instid0(SALU_CYCLE_1) | instskip(NEXT) | instid1(SALU_CYCLE_1)
	s_and_b32 vcc_lo, s1, s0
	v_dual_cndmask_b32 v11, v11, v13, vcc_lo :: v_dual_bitop2_b32 v5, 28, v2 bitop3:0x40
	s_mov_b32 s0, exec_lo
	s_delay_alu instid0(VALU_DEP_1) | instskip(SKIP_3) | instid1(VALU_DEP_1)
	v_dual_cndmask_b32 v10, v10, v12, vcc_lo :: v_dual_bitop2_b32 v6, 2, v5 bitop3:0x54
	v_lshlrev_b32_e32 v4, 3, v5
	ds_store_b64 v3, v[10:11]
	v_sub_nc_u32_e32 v14, v6, v5
	; wave barrier
	v_min_i32_e32 v9, v8, v14
	s_delay_alu instid0(VALU_DEP_1)
	v_cmpx_lt_i32_e64 v7, v9
	s_cbranch_execz .LBB30_8
; %bb.5:
	v_lshl_add_u32 v10, v8, 3, v4
.LBB30_6:                               ; =>This Inner Loop Header: Depth=1
	v_sub_nc_u32_e32 v11, v9, v7
	s_delay_alu instid0(VALU_DEP_1) | instskip(NEXT) | instid1(VALU_DEP_1)
	v_lshrrev_b32_e32 v11, 1, v11
	v_add_nc_u32_e32 v11, v11, v7
	s_delay_alu instid0(VALU_DEP_1) | instskip(SKIP_1) | instid1(VALU_DEP_2)
	v_not_b32_e32 v12, v11
	v_lshl_add_u32 v13, v11, 3, v4
	v_lshl_add_u32 v14, v12, 3, v10
	ds_load_b64 v[12:13], v13
	ds_load_b64 v[14:15], v14 offset:16
	s_wait_dscnt 0x0
	v_cmp_lt_f64_e32 vcc_lo, v[14:15], v[12:13]
	v_dual_cndmask_b32 v9, v9, v11 :: v_dual_add_nc_u32 v12, 1, v11
	s_delay_alu instid0(VALU_DEP_1) | instskip(NEXT) | instid1(VALU_DEP_1)
	v_cndmask_b32_e32 v7, v12, v7, vcc_lo
	v_cmp_ge_i32_e32 vcc_lo, v7, v9
	s_or_b32 s2, vcc_lo, s2
	s_delay_alu instid0(SALU_CYCLE_1)
	s_and_not1_b32 exec_lo, exec_lo, s2
	s_cbranch_execnz .LBB30_6
; %bb.7:
	s_or_b32 exec_lo, exec_lo, s2
.LBB30_8:
	s_delay_alu instid0(SALU_CYCLE_1) | instskip(SKIP_3) | instid1(VALU_DEP_3)
	s_or_b32 exec_lo, exec_lo, s0
	v_add_nc_u32_e32 v9, v5, v8
	v_lshl_add_u32 v4, v7, 3, v4
	v_cmp_lt_i32_e64 s0, 1, v7
	v_dual_add_nc_u32 v6, v6, v8 :: v_dual_sub_nc_u32 v9, v9, v7
	s_delay_alu instid0(VALU_DEP_1) | instskip(SKIP_3) | instid1(VALU_DEP_1)
	v_dual_sub_nc_u32 v6, v6, v7 :: v_dual_lshlrev_b32 v9, 3, v9
	ds_load_b64 v[10:11], v4
	ds_load_b64 v[12:13], v9 offset:16
	v_dual_add_nc_u32 v9, 4, v5 :: v_dual_bitop2_b32 v4, 24, v2 bitop3:0x40
	; wave barrier
	v_or_b32_e32 v5, 4, v4
	s_delay_alu instid0(VALU_DEP_2) | instskip(NEXT) | instid1(VALU_DEP_2)
	v_cmp_gt_i32_e64 s1, v9, v6
	v_dual_sub_nc_u32 v7, v5, v4 :: v_dual_bitop2_b32 v8, 7, v2 bitop3:0x40
	s_delay_alu instid0(VALU_DEP_1) | instskip(SKIP_3) | instid1(SALU_CYCLE_1)
	v_sub_nc_u32_e64 v6, v8, 4 clamp
	s_wait_dscnt 0x0
	v_cmp_lt_f64_e32 vcc_lo, v[12:13], v[10:11]
	s_or_b32 s0, s0, vcc_lo
	s_and_b32 vcc_lo, s1, s0
	s_delay_alu instid0(SALU_CYCLE_1)
	v_dual_cndmask_b32 v11, v11, v13, vcc_lo :: v_dual_min_i32 v9, v8, v7
	v_cndmask_b32_e32 v10, v10, v12, vcc_lo
	v_lshlrev_b32_e32 v7, 3, v4
	s_mov_b32 s0, exec_lo
	ds_store_b64 v3, v[10:11]
	; wave barrier
	v_cmpx_lt_i32_e64 v6, v9
	s_cbranch_execz .LBB30_12
; %bb.9:
	v_lshl_add_u32 v10, v8, 3, v7
	s_mov_b32 s1, 0
.LBB30_10:                              ; =>This Inner Loop Header: Depth=1
	v_sub_nc_u32_e32 v11, v9, v6
	s_delay_alu instid0(VALU_DEP_1) | instskip(NEXT) | instid1(VALU_DEP_1)
	v_lshrrev_b32_e32 v11, 1, v11
	v_add_nc_u32_e32 v11, v11, v6
	s_delay_alu instid0(VALU_DEP_1) | instskip(SKIP_1) | instid1(VALU_DEP_2)
	v_not_b32_e32 v12, v11
	v_lshl_add_u32 v13, v11, 3, v7
	v_lshl_add_u32 v14, v12, 3, v10
	ds_load_b64 v[12:13], v13
	ds_load_b64 v[14:15], v14 offset:32
	s_wait_dscnt 0x0
	v_cmp_lt_f64_e32 vcc_lo, v[14:15], v[12:13]
	v_dual_cndmask_b32 v9, v9, v11 :: v_dual_add_nc_u32 v12, 1, v11
	s_delay_alu instid0(VALU_DEP_1) | instskip(NEXT) | instid1(VALU_DEP_1)
	v_cndmask_b32_e32 v6, v12, v6, vcc_lo
	v_cmp_ge_i32_e32 vcc_lo, v6, v9
	s_or_b32 s1, vcc_lo, s1
	s_delay_alu instid0(SALU_CYCLE_1)
	s_and_not1_b32 exec_lo, exec_lo, s1
	s_cbranch_execnz .LBB30_10
; %bb.11:
	s_or_b32 exec_lo, exec_lo, s1
.LBB30_12:
	s_delay_alu instid0(SALU_CYCLE_1) | instskip(SKIP_4) | instid1(VALU_DEP_4)
	s_or_b32 exec_lo, exec_lo, s0
	v_add_nc_u32_e32 v9, v4, v8
	v_lshl_add_u32 v7, v6, 3, v7
	v_add_nc_u32_e32 v5, v5, v8
	v_cmp_lt_i32_e64 s0, 3, v6
	v_dual_add_nc_u32 v8, 8, v4 :: v_dual_sub_nc_u32 v9, v9, v6
	s_delay_alu instid0(VALU_DEP_1) | instskip(SKIP_3) | instid1(VALU_DEP_1)
	v_lshlrev_b32_e32 v9, 3, v9
	ds_load_b64 v[10:11], v7
	ds_load_b64 v[12:13], v9 offset:32
	v_and_b32_e32 v7, 16, v2
	; wave barrier
	v_or_b32_e32 v4, 8, v7
	s_delay_alu instid0(VALU_DEP_1) | instskip(NEXT) | instid1(VALU_DEP_1)
	v_dual_sub_nc_u32 v14, v4, v7 :: v_dual_sub_nc_u32 v9, v5, v6
	v_cmp_gt_i32_e64 s1, v8, v9
	v_lshlrev_b32_e32 v8, 3, v7
	s_wait_dscnt 0x0
	v_cmp_lt_f64_e32 vcc_lo, v[12:13], v[10:11]
	s_or_b32 s0, s0, vcc_lo
	s_delay_alu instid0(SALU_CYCLE_1) | instskip(NEXT) | instid1(SALU_CYCLE_1)
	s_and_b32 vcc_lo, s1, s0
	v_dual_cndmask_b32 v10, v10, v12, vcc_lo :: v_dual_bitop2_b32 v5, 15, v2 bitop3:0x40
	v_cndmask_b32_e32 v11, v11, v13, vcc_lo
	s_mov_b32 s0, exec_lo
	s_delay_alu instid0(VALU_DEP_2)
	v_sub_nc_u32_e64 v6, v5, 8 clamp
	v_min_i32_e32 v9, v5, v14
	ds_store_b64 v3, v[10:11]
	; wave barrier
	v_cmpx_lt_i32_e64 v6, v9
	s_cbranch_execz .LBB30_16
; %bb.13:
	v_lshl_add_u32 v10, v5, 3, v8
	s_mov_b32 s1, 0
.LBB30_14:                              ; =>This Inner Loop Header: Depth=1
	v_sub_nc_u32_e32 v11, v9, v6
	s_delay_alu instid0(VALU_DEP_1) | instskip(NEXT) | instid1(VALU_DEP_1)
	v_lshrrev_b32_e32 v11, 1, v11
	v_add_nc_u32_e32 v11, v11, v6
	s_delay_alu instid0(VALU_DEP_1) | instskip(SKIP_1) | instid1(VALU_DEP_2)
	v_not_b32_e32 v12, v11
	v_lshl_add_u32 v13, v11, 3, v8
	v_lshl_add_u32 v14, v12, 3, v10
	ds_load_b64 v[12:13], v13
	ds_load_b64 v[14:15], v14 offset:64
	s_wait_dscnt 0x0
	v_cmp_lt_f64_e32 vcc_lo, v[14:15], v[12:13]
	v_dual_cndmask_b32 v9, v9, v11 :: v_dual_add_nc_u32 v12, 1, v11
	s_delay_alu instid0(VALU_DEP_1) | instskip(NEXT) | instid1(VALU_DEP_1)
	v_cndmask_b32_e32 v6, v12, v6, vcc_lo
	v_cmp_ge_i32_e32 vcc_lo, v6, v9
	s_or_b32 s1, vcc_lo, s1
	s_delay_alu instid0(SALU_CYCLE_1)
	s_and_not1_b32 exec_lo, exec_lo, s1
	s_cbranch_execnz .LBB30_14
; %bb.15:
	s_or_b32 exec_lo, exec_lo, s1
.LBB30_16:
	s_delay_alu instid0(SALU_CYCLE_1) | instskip(SKIP_3) | instid1(VALU_DEP_3)
	s_or_b32 exec_lo, exec_lo, s0
	v_dual_add_nc_u32 v9, v7, v5 :: v_dual_add_nc_u32 v4, v4, v5
	v_lshl_add_u32 v8, v6, 3, v8
	v_cmp_lt_i32_e64 s0, 7, v6
	v_dual_add_nc_u32 v5, 16, v7 :: v_dual_sub_nc_u32 v9, v9, v6
	s_delay_alu instid0(VALU_DEP_1)
	v_dual_sub_nc_u32 v4, v4, v6 :: v_dual_lshlrev_b32 v10, 3, v9
	ds_load_b64 v[8:9], v8
	ds_load_b64 v[10:11], v10 offset:64
	v_cmp_gt_i32_e64 s1, v5, v4
	v_sub_nc_u32_e64 v4, v2, 16 clamp
	v_min_u32_e32 v5, 16, v2
	; wave barrier
	s_wait_dscnt 0x0
	v_cmp_lt_f64_e32 vcc_lo, v[10:11], v[8:9]
	s_or_b32 s0, s0, vcc_lo
	s_delay_alu instid0(SALU_CYCLE_1)
	s_and_b32 vcc_lo, s1, s0
	s_mov_b32 s0, exec_lo
	v_dual_cndmask_b32 v7, v9, v11 :: v_dual_cndmask_b32 v6, v8, v10
	ds_store_b64 v3, v[6:7]
	; wave barrier
	v_cmpx_lt_u32_e64 v4, v5
	s_cbranch_execz .LBB30_20
; %bb.17:
	s_mov_b32 s1, 0
.LBB30_18:                              ; =>This Inner Loop Header: Depth=1
	v_sub_nc_u32_e32 v6, v5, v4
	s_delay_alu instid0(VALU_DEP_1) | instskip(NEXT) | instid1(VALU_DEP_1)
	v_lshrrev_b32_e32 v6, 1, v6
	v_add_nc_u32_e32 v10, v6, v4
	s_delay_alu instid0(VALU_DEP_1) | instskip(SKIP_1) | instid1(VALU_DEP_2)
	v_not_b32_e32 v6, v10
	v_lshlrev_b32_e32 v7, 3, v10
	v_lshl_add_u32 v8, v6, 3, v3
	ds_load_b64 v[6:7], v7
	ds_load_b64 v[8:9], v8 offset:128
	s_wait_dscnt 0x0
	v_cmp_lt_f64_e32 vcc_lo, v[8:9], v[6:7]
	v_add_nc_u32_e32 v6, 1, v10
	s_delay_alu instid0(VALU_DEP_1) | instskip(NEXT) | instid1(VALU_DEP_1)
	v_dual_cndmask_b32 v4, v6, v4 :: v_dual_cndmask_b32 v5, v5, v10
	v_cmp_ge_i32_e32 vcc_lo, v4, v5
	s_or_b32 s1, vcc_lo, s1
	s_delay_alu instid0(SALU_CYCLE_1)
	s_and_not1_b32 exec_lo, exec_lo, s1
	s_cbranch_execnz .LBB30_18
; %bb.19:
	s_or_b32 exec_lo, exec_lo, s1
.LBB30_20:
	s_delay_alu instid0(SALU_CYCLE_1) | instskip(SKIP_2) | instid1(VALU_DEP_2)
	s_or_b32 exec_lo, exec_lo, s0
	v_dual_sub_nc_u32 v5, v2, v4 :: v_dual_lshlrev_b32 v2, 3, v4
	v_cmp_lt_i32_e64 s0, 15, v4
	v_dual_lshlrev_b32 v6, 3, v5 :: v_dual_add_nc_u32 v5, 16, v5
	ds_load_b64 v[2:3], v2
	ds_load_b64 v[6:7], v6 offset:128
	v_cmp_gt_i32_e64 s1, 32, v5
	s_wait_dscnt 0x0
	v_cmp_lt_f64_e32 vcc_lo, v[6:7], v[2:3]
	s_or_b32 s0, s0, vcc_lo
	s_delay_alu instid0(SALU_CYCLE_1)
	s_and_b32 vcc_lo, s1, s0
	v_dual_cndmask_b32 v3, v3, v7 :: v_dual_cndmask_b32 v2, v2, v6
	global_store_b64 v[0:1], v[2:3], off
	s_endpgm
	.section	.rodata,"a",@progbits
	.p2align	6, 0x0
	.amdhsa_kernel _Z14sort_keys_fullILj32ELj32ELj1ELb0EdN10test_utils4lessEEvPT3_T4_
		.amdhsa_group_segment_fixed_size 264
		.amdhsa_private_segment_fixed_size 0
		.amdhsa_kernarg_size 12
		.amdhsa_user_sgpr_count 2
		.amdhsa_user_sgpr_dispatch_ptr 0
		.amdhsa_user_sgpr_queue_ptr 0
		.amdhsa_user_sgpr_kernarg_segment_ptr 1
		.amdhsa_user_sgpr_dispatch_id 0
		.amdhsa_user_sgpr_kernarg_preload_length 0
		.amdhsa_user_sgpr_kernarg_preload_offset 0
		.amdhsa_user_sgpr_private_segment_size 0
		.amdhsa_wavefront_size32 1
		.amdhsa_uses_dynamic_stack 0
		.amdhsa_enable_private_segment 0
		.amdhsa_system_sgpr_workgroup_id_x 1
		.amdhsa_system_sgpr_workgroup_id_y 0
		.amdhsa_system_sgpr_workgroup_id_z 0
		.amdhsa_system_sgpr_workgroup_info 0
		.amdhsa_system_vgpr_workitem_id 0
		.amdhsa_next_free_vgpr 16
		.amdhsa_next_free_sgpr 6
		.amdhsa_named_barrier_count 0
		.amdhsa_reserve_vcc 1
		.amdhsa_float_round_mode_32 0
		.amdhsa_float_round_mode_16_64 0
		.amdhsa_float_denorm_mode_32 3
		.amdhsa_float_denorm_mode_16_64 3
		.amdhsa_fp16_overflow 0
		.amdhsa_memory_ordered 1
		.amdhsa_forward_progress 1
		.amdhsa_inst_pref_size 13
		.amdhsa_round_robin_scheduling 0
		.amdhsa_exception_fp_ieee_invalid_op 0
		.amdhsa_exception_fp_denorm_src 0
		.amdhsa_exception_fp_ieee_div_zero 0
		.amdhsa_exception_fp_ieee_overflow 0
		.amdhsa_exception_fp_ieee_underflow 0
		.amdhsa_exception_fp_ieee_inexact 0
		.amdhsa_exception_int_div_zero 0
	.end_amdhsa_kernel
	.section	.text._Z14sort_keys_fullILj32ELj32ELj1ELb0EdN10test_utils4lessEEvPT3_T4_,"axG",@progbits,_Z14sort_keys_fullILj32ELj32ELj1ELb0EdN10test_utils4lessEEvPT3_T4_,comdat
.Lfunc_end30:
	.size	_Z14sort_keys_fullILj32ELj32ELj1ELb0EdN10test_utils4lessEEvPT3_T4_, .Lfunc_end30-_Z14sort_keys_fullILj32ELj32ELj1ELb0EdN10test_utils4lessEEvPT3_T4_
                                        ; -- End function
	.set _Z14sort_keys_fullILj32ELj32ELj1ELb0EdN10test_utils4lessEEvPT3_T4_.num_vgpr, 16
	.set _Z14sort_keys_fullILj32ELj32ELj1ELb0EdN10test_utils4lessEEvPT3_T4_.num_agpr, 0
	.set _Z14sort_keys_fullILj32ELj32ELj1ELb0EdN10test_utils4lessEEvPT3_T4_.numbered_sgpr, 6
	.set _Z14sort_keys_fullILj32ELj32ELj1ELb0EdN10test_utils4lessEEvPT3_T4_.num_named_barrier, 0
	.set _Z14sort_keys_fullILj32ELj32ELj1ELb0EdN10test_utils4lessEEvPT3_T4_.private_seg_size, 0
	.set _Z14sort_keys_fullILj32ELj32ELj1ELb0EdN10test_utils4lessEEvPT3_T4_.uses_vcc, 1
	.set _Z14sort_keys_fullILj32ELj32ELj1ELb0EdN10test_utils4lessEEvPT3_T4_.uses_flat_scratch, 0
	.set _Z14sort_keys_fullILj32ELj32ELj1ELb0EdN10test_utils4lessEEvPT3_T4_.has_dyn_sized_stack, 0
	.set _Z14sort_keys_fullILj32ELj32ELj1ELb0EdN10test_utils4lessEEvPT3_T4_.has_recursion, 0
	.set _Z14sort_keys_fullILj32ELj32ELj1ELb0EdN10test_utils4lessEEvPT3_T4_.has_indirect_call, 0
	.section	.AMDGPU.csdata,"",@progbits
; Kernel info:
; codeLenInByte = 1564
; TotalNumSgprs: 8
; NumVgprs: 16
; ScratchSize: 0
; MemoryBound: 0
; FloatMode: 240
; IeeeMode: 1
; LDSByteSize: 264 bytes/workgroup (compile time only)
; SGPRBlocks: 0
; VGPRBlocks: 0
; NumSGPRsForWavesPerEU: 8
; NumVGPRsForWavesPerEU: 16
; NamedBarCnt: 0
; Occupancy: 16
; WaveLimiterHint : 0
; COMPUTE_PGM_RSRC2:SCRATCH_EN: 0
; COMPUTE_PGM_RSRC2:USER_SGPR: 2
; COMPUTE_PGM_RSRC2:TRAP_HANDLER: 0
; COMPUTE_PGM_RSRC2:TGID_X_EN: 1
; COMPUTE_PGM_RSRC2:TGID_Y_EN: 0
; COMPUTE_PGM_RSRC2:TGID_Z_EN: 0
; COMPUTE_PGM_RSRC2:TIDIG_COMP_CNT: 0
	.section	.text._Z14sort_keys_fullILj64ELj16ELj1ELb0EfN10test_utils4lessEEvPT3_T4_,"axG",@progbits,_Z14sort_keys_fullILj64ELj16ELj1ELb0EfN10test_utils4lessEEvPT3_T4_,comdat
	.protected	_Z14sort_keys_fullILj64ELj16ELj1ELb0EfN10test_utils4lessEEvPT3_T4_ ; -- Begin function _Z14sort_keys_fullILj64ELj16ELj1ELb0EfN10test_utils4lessEEvPT3_T4_
	.globl	_Z14sort_keys_fullILj64ELj16ELj1ELb0EfN10test_utils4lessEEvPT3_T4_
	.p2align	8
	.type	_Z14sort_keys_fullILj64ELj16ELj1ELb0EfN10test_utils4lessEEvPT3_T4_,@function
_Z14sort_keys_fullILj64ELj16ELj1ELb0EfN10test_utils4lessEEvPT3_T4_: ; @_Z14sort_keys_fullILj64ELj16ELj1ELb0EfN10test_utils4lessEEvPT3_T4_
; %bb.0:
	s_load_b64 s[0:1], s[0:1], 0x0
	s_bfe_u32 s2, ttmp6, 0x4000c
	s_and_b32 s3, ttmp6, 15
	s_add_co_i32 s2, s2, 1
	s_getreg_b32 s4, hwreg(HW_REG_IB_STS2, 6, 4)
	s_mul_i32 s2, ttmp9, s2
	v_mbcnt_lo_u32_b32 v5, -1, 0
	s_add_co_i32 s3, s3, s2
	s_cmp_eq_u32 s4, 0
	v_mov_b32_e32 v1, 0
	s_cselect_b32 s2, ttmp9, s3
	s_mov_b32 s3, 0
	s_lshl_b32 s2, s2, 6
	v_and_b32_e32 v7, 14, v5
	s_lshl_b64 s[4:5], s[2:3], 2
	v_dual_lshrrev_b32 v11, 4, v0 :: v_dual_mov_b32 v9, v1
	s_mov_b32 s2, exec_lo
	s_delay_alu instid0(VALU_DEP_2)
	v_or_b32_e32 v6, 1, v7
	v_and_b32_e32 v2, 15, v5
	s_wait_kmcnt 0x0
	s_add_nc_u64 s[0:1], s[0:1], s[4:5]
	global_load_b32 v10, v0, s[0:1] scale_offset
	v_dual_sub_nc_u32 v3, v6, v7 :: v_dual_bitop2_b32 v8, 1, v5 bitop3:0x40
	s_wait_xcnt 0x0
	v_dual_lshlrev_b32 v4, 2, v2 :: v_dual_lshlrev_b32 v0, 2, v0
	; wave barrier
	s_delay_alu instid0(VALU_DEP_2) | instskip(NEXT) | instid1(VALU_DEP_2)
	v_min_i32_e32 v12, v8, v3
	v_mad_u32_u24 v4, 0x44, v11, v4
	v_mul_u32_u24_e32 v3, 0x44, v11
	s_wait_loadcnt 0x0
	ds_store_b32 v4, v10
	; wave barrier
	v_cmpx_lt_i32_e32 0, v12
	s_cbranch_execz .LBB31_4
; %bb.1:
	v_lshl_add_u32 v10, v7, 2, v3
	v_dual_mov_b32 v11, 1 :: v_dual_mov_b32 v9, v1
	s_delay_alu instid0(VALU_DEP_2)
	v_lshl_add_u32 v12, v8, 2, v10
.LBB31_2:                               ; =>This Inner Loop Header: Depth=1
	s_delay_alu instid0(VALU_DEP_2) | instskip(NEXT) | instid1(VALU_DEP_1)
	v_sub_nc_u32_e32 v13, v11, v9
	v_lshrrev_b32_e32 v13, 1, v13
	s_delay_alu instid0(VALU_DEP_1) | instskip(NEXT) | instid1(VALU_DEP_1)
	v_add_nc_u32_e32 v13, v13, v9
	v_not_b32_e32 v14, v13
	v_lshl_add_u32 v15, v13, 2, v10
	s_delay_alu instid0(VALU_DEP_2)
	v_lshl_add_u32 v14, v14, 2, v12
	ds_load_b32 v15, v15
	ds_load_b32 v14, v14 offset:4
	s_wait_dscnt 0x0
	v_cmp_lt_f32_e32 vcc_lo, v14, v15
	v_dual_cndmask_b32 v11, v11, v13 :: v_dual_add_nc_u32 v16, 1, v13
	s_delay_alu instid0(VALU_DEP_1) | instskip(NEXT) | instid1(VALU_DEP_1)
	v_cndmask_b32_e32 v9, v16, v9, vcc_lo
	v_cmp_ge_i32_e32 vcc_lo, v9, v11
	s_or_b32 s3, vcc_lo, s3
	s_delay_alu instid0(SALU_CYCLE_1)
	s_and_not1_b32 exec_lo, exec_lo, s3
	s_cbranch_execnz .LBB31_2
; %bb.3:
	s_or_b32 exec_lo, exec_lo, s3
.LBB31_4:
	s_delay_alu instid0(SALU_CYCLE_1) | instskip(SKIP_4) | instid1(VALU_DEP_4)
	s_or_b32 exec_lo, exec_lo, s2
	v_dual_add_nc_u32 v10, v7, v8 :: v_dual_lshlrev_b32 v11, 2, v9
	v_lshlrev_b32_e32 v7, 2, v7
	v_add_nc_u64_e32 v[0:1], s[0:1], v[0:1]
	v_cmp_lt_i32_e32 vcc_lo, 0, v9
	v_sub_nc_u32_e32 v10, v10, v9
	s_delay_alu instid0(VALU_DEP_4) | instskip(NEXT) | instid1(VALU_DEP_2)
	v_add3_u32 v7, v3, v11, v7
	v_lshl_add_u32 v10, v10, 2, v3
	ds_load_b32 v11, v7
	ds_load_b32 v12, v10 offset:4
	v_dual_add_nc_u32 v10, v6, v8 :: v_dual_bitop2_b32 v7, 12, v5 bitop3:0x40
	; wave barrier
	s_delay_alu instid0(VALU_DEP_1) | instskip(NEXT) | instid1(VALU_DEP_1)
	v_dual_sub_nc_u32 v10, v10, v9 :: v_dual_bitop2_b32 v8, 2, v7 bitop3:0x54
	v_dual_sub_nc_u32 v13, v8, v7 :: v_dual_bitop2_b32 v9, 3, v5 bitop3:0x40
	s_delay_alu instid0(VALU_DEP_2) | instskip(NEXT) | instid1(VALU_DEP_2)
	v_cmp_ge_i32_e64 s1, v6, v10
	v_sub_nc_u32_e64 v6, v9, 2 clamp
	s_wait_dscnt 0x0
	v_cmp_lt_f32_e64 s0, v12, v11
	s_or_b32 s0, vcc_lo, s0
	s_delay_alu instid0(SALU_CYCLE_1)
	s_and_b32 vcc_lo, s1, s0
	v_dual_cndmask_b32 v11, v11, v12 :: v_dual_min_i32 v10, v9, v13
	s_mov_b32 s0, 0
	s_mov_b32 s1, exec_lo
	ds_store_b32 v4, v11
	; wave barrier
	v_cmpx_lt_i32_e64 v6, v10
	s_cbranch_execz .LBB31_8
; %bb.5:
	v_lshl_add_u32 v11, v7, 2, v3
	s_delay_alu instid0(VALU_DEP_1)
	v_lshl_add_u32 v12, v9, 2, v11
.LBB31_6:                               ; =>This Inner Loop Header: Depth=1
	v_sub_nc_u32_e32 v13, v10, v6
	s_delay_alu instid0(VALU_DEP_1) | instskip(NEXT) | instid1(VALU_DEP_1)
	v_lshrrev_b32_e32 v13, 1, v13
	v_add_nc_u32_e32 v13, v13, v6
	s_delay_alu instid0(VALU_DEP_1) | instskip(SKIP_1) | instid1(VALU_DEP_2)
	v_not_b32_e32 v14, v13
	v_lshl_add_u32 v15, v13, 2, v11
	v_lshl_add_u32 v14, v14, 2, v12
	ds_load_b32 v15, v15
	ds_load_b32 v14, v14 offset:8
	s_wait_dscnt 0x0
	v_cmp_lt_f32_e32 vcc_lo, v14, v15
	v_dual_add_nc_u32 v16, 1, v13 :: v_dual_cndmask_b32 v10, v10, v13, vcc_lo
	s_delay_alu instid0(VALU_DEP_1) | instskip(NEXT) | instid1(VALU_DEP_1)
	v_cndmask_b32_e32 v6, v16, v6, vcc_lo
	v_cmp_ge_i32_e32 vcc_lo, v6, v10
	s_or_b32 s0, vcc_lo, s0
	s_delay_alu instid0(SALU_CYCLE_1)
	s_and_not1_b32 exec_lo, exec_lo, s0
	s_cbranch_execnz .LBB31_6
; %bb.7:
	s_or_b32 exec_lo, exec_lo, s0
.LBB31_8:
	s_delay_alu instid0(SALU_CYCLE_1) | instskip(SKIP_3) | instid1(VALU_DEP_3)
	s_or_b32 exec_lo, exec_lo, s1
	v_dual_add_nc_u32 v10, v7, v9 :: v_dual_lshlrev_b32 v11, 2, v6
	v_lshlrev_b32_e32 v12, 2, v7
	v_cmp_lt_i32_e32 vcc_lo, 1, v6
	v_sub_nc_u32_e32 v10, v10, v6
	s_delay_alu instid0(VALU_DEP_3) | instskip(NEXT) | instid1(VALU_DEP_2)
	v_add3_u32 v11, v3, v11, v12
	v_lshl_add_u32 v10, v10, 2, v3
	ds_load_b32 v11, v11
	ds_load_b32 v12, v10 offset:8
	v_and_b32_e32 v10, 8, v5
	v_dual_add_nc_u32 v8, v8, v9 :: v_dual_add_nc_u32 v9, 4, v7
	v_and_b32_e32 v5, 7, v5
	s_delay_alu instid0(VALU_DEP_3) | instskip(NEXT) | instid1(VALU_DEP_3)
	v_or_b32_e32 v7, 4, v10
	v_sub_nc_u32_e32 v8, v8, v6
	; wave barrier
	s_delay_alu instid0(VALU_DEP_3) | instskip(NEXT) | instid1(VALU_DEP_3)
	v_sub_nc_u32_e64 v6, v5, 4 clamp
	v_sub_nc_u32_e32 v13, v7, v10
	s_delay_alu instid0(VALU_DEP_3) | instskip(SKIP_3) | instid1(SALU_CYCLE_1)
	v_cmp_gt_i32_e64 s1, v9, v8
	s_wait_dscnt 0x0
	v_cmp_lt_f32_e64 s0, v12, v11
	s_or_b32 s0, vcc_lo, s0
	s_and_b32 vcc_lo, s1, s0
	v_dual_cndmask_b32 v9, v11, v12 :: v_dual_min_i32 v8, v5, v13
	s_mov_b32 s0, exec_lo
	ds_store_b32 v4, v9
	; wave barrier
	v_cmpx_lt_i32_e64 v6, v8
	s_cbranch_execz .LBB31_12
; %bb.9:
	v_lshl_add_u32 v9, v10, 2, v3
	s_mov_b32 s1, 0
	s_delay_alu instid0(VALU_DEP_1)
	v_lshl_add_u32 v11, v5, 2, v9
.LBB31_10:                              ; =>This Inner Loop Header: Depth=1
	v_sub_nc_u32_e32 v12, v8, v6
	s_delay_alu instid0(VALU_DEP_1) | instskip(NEXT) | instid1(VALU_DEP_1)
	v_lshrrev_b32_e32 v12, 1, v12
	v_add_nc_u32_e32 v12, v12, v6
	s_delay_alu instid0(VALU_DEP_1) | instskip(SKIP_1) | instid1(VALU_DEP_2)
	v_not_b32_e32 v13, v12
	v_lshl_add_u32 v14, v12, 2, v9
	v_lshl_add_u32 v13, v13, 2, v11
	ds_load_b32 v14, v14
	ds_load_b32 v13, v13 offset:16
	s_wait_dscnt 0x0
	v_cmp_lt_f32_e32 vcc_lo, v13, v14
	v_dual_cndmask_b32 v8, v8, v12 :: v_dual_add_nc_u32 v15, 1, v12
	s_delay_alu instid0(VALU_DEP_1) | instskip(NEXT) | instid1(VALU_DEP_1)
	v_cndmask_b32_e32 v6, v15, v6, vcc_lo
	v_cmp_ge_i32_e32 vcc_lo, v6, v8
	s_or_b32 s1, vcc_lo, s1
	s_delay_alu instid0(SALU_CYCLE_1)
	s_and_not1_b32 exec_lo, exec_lo, s1
	s_cbranch_execnz .LBB31_10
; %bb.11:
	s_or_b32 exec_lo, exec_lo, s1
.LBB31_12:
	s_delay_alu instid0(SALU_CYCLE_1) | instskip(SKIP_3) | instid1(VALU_DEP_3)
	s_or_b32 exec_lo, exec_lo, s0
	v_dual_add_nc_u32 v8, v10, v5 :: v_dual_lshlrev_b32 v9, 2, v6
	v_dual_lshlrev_b32 v11, 2, v10 :: v_dual_add_nc_u32 v5, v7, v5
	v_add_nc_u32_e32 v7, 8, v10
	v_sub_nc_u32_e32 v8, v8, v6
	v_cmp_lt_i32_e32 vcc_lo, 3, v6
	s_delay_alu instid0(VALU_DEP_4)
	v_add3_u32 v9, v3, v9, v11
	v_sub_nc_u32_e32 v5, v5, v6
	v_min_u32_e32 v6, 8, v2
	v_lshl_add_u32 v8, v8, 2, v3
	ds_load_b32 v9, v9
	ds_load_b32 v8, v8 offset:16
	v_cmp_gt_i32_e64 s1, v7, v5
	v_sub_nc_u32_e64 v5, v2, 8 clamp
	; wave barrier
	s_wait_dscnt 0x0
	v_cmp_lt_f32_e64 s0, v8, v9
	s_or_b32 s0, vcc_lo, s0
	s_delay_alu instid0(SALU_CYCLE_1)
	s_and_b32 vcc_lo, s1, s0
	s_mov_b32 s0, exec_lo
	v_cndmask_b32_e32 v7, v9, v8, vcc_lo
	ds_store_b32 v4, v7
	; wave barrier
	v_cmpx_lt_u32_e64 v5, v6
	s_cbranch_execz .LBB31_16
; %bb.13:
	s_mov_b32 s1, 0
.LBB31_14:                              ; =>This Inner Loop Header: Depth=1
	v_sub_nc_u32_e32 v7, v6, v5
	s_delay_alu instid0(VALU_DEP_1) | instskip(NEXT) | instid1(VALU_DEP_1)
	v_lshrrev_b32_e32 v7, 1, v7
	v_add_nc_u32_e32 v7, v7, v5
	s_delay_alu instid0(VALU_DEP_1) | instskip(SKIP_1) | instid1(VALU_DEP_2)
	v_not_b32_e32 v8, v7
	v_lshl_add_u32 v9, v7, 2, v3
	v_lshl_add_u32 v8, v8, 2, v4
	ds_load_b32 v9, v9
	ds_load_b32 v8, v8 offset:32
	s_wait_dscnt 0x0
	v_cmp_lt_f32_e32 vcc_lo, v8, v9
	v_dual_add_nc_u32 v10, 1, v7 :: v_dual_cndmask_b32 v6, v6, v7, vcc_lo
	s_delay_alu instid0(VALU_DEP_1) | instskip(NEXT) | instid1(VALU_DEP_1)
	v_cndmask_b32_e32 v5, v10, v5, vcc_lo
	v_cmp_ge_i32_e32 vcc_lo, v5, v6
	s_or_b32 s1, vcc_lo, s1
	s_delay_alu instid0(SALU_CYCLE_1)
	s_and_not1_b32 exec_lo, exec_lo, s1
	s_cbranch_execnz .LBB31_14
; %bb.15:
	s_or_b32 exec_lo, exec_lo, s1
.LBB31_16:
	s_delay_alu instid0(SALU_CYCLE_1) | instskip(SKIP_3) | instid1(VALU_DEP_3)
	s_or_b32 exec_lo, exec_lo, s0
	v_sub_nc_u32_e32 v2, v2, v5
	v_lshl_add_u32 v4, v5, 2, v3
	v_cmp_lt_i32_e32 vcc_lo, 7, v5
	v_lshl_add_u32 v3, v2, 2, v3
	v_add_nc_u32_e32 v2, 8, v2
	ds_load_b32 v4, v4
	ds_load_b32 v3, v3 offset:32
	v_cmp_gt_i32_e64 s1, 16, v2
	s_wait_dscnt 0x0
	v_cmp_lt_f32_e64 s0, v3, v4
	s_or_b32 s0, vcc_lo, s0
	s_delay_alu instid0(SALU_CYCLE_1)
	s_and_b32 vcc_lo, s1, s0
	v_cndmask_b32_e32 v2, v4, v3, vcc_lo
	global_store_b32 v[0:1], v2, off
	s_endpgm
	.section	.rodata,"a",@progbits
	.p2align	6, 0x0
	.amdhsa_kernel _Z14sort_keys_fullILj64ELj16ELj1ELb0EfN10test_utils4lessEEvPT3_T4_
		.amdhsa_group_segment_fixed_size 272
		.amdhsa_private_segment_fixed_size 0
		.amdhsa_kernarg_size 12
		.amdhsa_user_sgpr_count 2
		.amdhsa_user_sgpr_dispatch_ptr 0
		.amdhsa_user_sgpr_queue_ptr 0
		.amdhsa_user_sgpr_kernarg_segment_ptr 1
		.amdhsa_user_sgpr_dispatch_id 0
		.amdhsa_user_sgpr_kernarg_preload_length 0
		.amdhsa_user_sgpr_kernarg_preload_offset 0
		.amdhsa_user_sgpr_private_segment_size 0
		.amdhsa_wavefront_size32 1
		.amdhsa_uses_dynamic_stack 0
		.amdhsa_enable_private_segment 0
		.amdhsa_system_sgpr_workgroup_id_x 1
		.amdhsa_system_sgpr_workgroup_id_y 0
		.amdhsa_system_sgpr_workgroup_id_z 0
		.amdhsa_system_sgpr_workgroup_info 0
		.amdhsa_system_vgpr_workitem_id 0
		.amdhsa_next_free_vgpr 17
		.amdhsa_next_free_sgpr 6
		.amdhsa_named_barrier_count 0
		.amdhsa_reserve_vcc 1
		.amdhsa_float_round_mode_32 0
		.amdhsa_float_round_mode_16_64 0
		.amdhsa_float_denorm_mode_32 3
		.amdhsa_float_denorm_mode_16_64 3
		.amdhsa_fp16_overflow 0
		.amdhsa_memory_ordered 1
		.amdhsa_forward_progress 1
		.amdhsa_inst_pref_size 11
		.amdhsa_round_robin_scheduling 0
		.amdhsa_exception_fp_ieee_invalid_op 0
		.amdhsa_exception_fp_denorm_src 0
		.amdhsa_exception_fp_ieee_div_zero 0
		.amdhsa_exception_fp_ieee_overflow 0
		.amdhsa_exception_fp_ieee_underflow 0
		.amdhsa_exception_fp_ieee_inexact 0
		.amdhsa_exception_int_div_zero 0
	.end_amdhsa_kernel
	.section	.text._Z14sort_keys_fullILj64ELj16ELj1ELb0EfN10test_utils4lessEEvPT3_T4_,"axG",@progbits,_Z14sort_keys_fullILj64ELj16ELj1ELb0EfN10test_utils4lessEEvPT3_T4_,comdat
.Lfunc_end31:
	.size	_Z14sort_keys_fullILj64ELj16ELj1ELb0EfN10test_utils4lessEEvPT3_T4_, .Lfunc_end31-_Z14sort_keys_fullILj64ELj16ELj1ELb0EfN10test_utils4lessEEvPT3_T4_
                                        ; -- End function
	.set _Z14sort_keys_fullILj64ELj16ELj1ELb0EfN10test_utils4lessEEvPT3_T4_.num_vgpr, 17
	.set _Z14sort_keys_fullILj64ELj16ELj1ELb0EfN10test_utils4lessEEvPT3_T4_.num_agpr, 0
	.set _Z14sort_keys_fullILj64ELj16ELj1ELb0EfN10test_utils4lessEEvPT3_T4_.numbered_sgpr, 6
	.set _Z14sort_keys_fullILj64ELj16ELj1ELb0EfN10test_utils4lessEEvPT3_T4_.num_named_barrier, 0
	.set _Z14sort_keys_fullILj64ELj16ELj1ELb0EfN10test_utils4lessEEvPT3_T4_.private_seg_size, 0
	.set _Z14sort_keys_fullILj64ELj16ELj1ELb0EfN10test_utils4lessEEvPT3_T4_.uses_vcc, 1
	.set _Z14sort_keys_fullILj64ELj16ELj1ELb0EfN10test_utils4lessEEvPT3_T4_.uses_flat_scratch, 0
	.set _Z14sort_keys_fullILj64ELj16ELj1ELb0EfN10test_utils4lessEEvPT3_T4_.has_dyn_sized_stack, 0
	.set _Z14sort_keys_fullILj64ELj16ELj1ELb0EfN10test_utils4lessEEvPT3_T4_.has_recursion, 0
	.set _Z14sort_keys_fullILj64ELj16ELj1ELb0EfN10test_utils4lessEEvPT3_T4_.has_indirect_call, 0
	.section	.AMDGPU.csdata,"",@progbits
; Kernel info:
; codeLenInByte = 1336
; TotalNumSgprs: 8
; NumVgprs: 17
; ScratchSize: 0
; MemoryBound: 0
; FloatMode: 240
; IeeeMode: 1
; LDSByteSize: 272 bytes/workgroup (compile time only)
; SGPRBlocks: 0
; VGPRBlocks: 1
; NumSGPRsForWavesPerEU: 8
; NumVGPRsForWavesPerEU: 17
; NamedBarCnt: 0
; Occupancy: 16
; WaveLimiterHint : 0
; COMPUTE_PGM_RSRC2:SCRATCH_EN: 0
; COMPUTE_PGM_RSRC2:USER_SGPR: 2
; COMPUTE_PGM_RSRC2:TRAP_HANDLER: 0
; COMPUTE_PGM_RSRC2:TGID_X_EN: 1
; COMPUTE_PGM_RSRC2:TGID_Y_EN: 0
; COMPUTE_PGM_RSRC2:TGID_Z_EN: 0
; COMPUTE_PGM_RSRC2:TIDIG_COMP_CNT: 0
	.section	.text._Z14sort_keys_fullILj256ELj2ELj1ELb0EjN10test_utils4lessEEvPT3_T4_,"axG",@progbits,_Z14sort_keys_fullILj256ELj2ELj1ELb0EjN10test_utils4lessEEvPT3_T4_,comdat
	.protected	_Z14sort_keys_fullILj256ELj2ELj1ELb0EjN10test_utils4lessEEvPT3_T4_ ; -- Begin function _Z14sort_keys_fullILj256ELj2ELj1ELb0EjN10test_utils4lessEEvPT3_T4_
	.globl	_Z14sort_keys_fullILj256ELj2ELj1ELb0EjN10test_utils4lessEEvPT3_T4_
	.p2align	8
	.type	_Z14sort_keys_fullILj256ELj2ELj1ELb0EjN10test_utils4lessEEvPT3_T4_,@function
_Z14sort_keys_fullILj256ELj2ELj1ELb0EjN10test_utils4lessEEvPT3_T4_: ; @_Z14sort_keys_fullILj256ELj2ELj1ELb0EjN10test_utils4lessEEvPT3_T4_
; %bb.0:
	s_load_b64 s[0:1], s[0:1], 0x0
	s_bfe_u32 s2, ttmp6, 0x4000c
	s_and_b32 s3, ttmp6, 15
	s_add_co_i32 s2, s2, 1
	s_getreg_b32 s4, hwreg(HW_REG_IB_STS2, 6, 4)
	s_mul_i32 s2, ttmp9, s2
	v_mbcnt_lo_u32_b32 v1, -1, 0
	s_add_co_i32 s3, s3, s2
	s_cmp_eq_u32 s4, 0
	s_cselect_b32 s2, ttmp9, s3
	s_mov_b32 s3, 0
	s_lshl_b32 s2, s2, 8
	v_dual_mov_b32 v1, 0 :: v_dual_bitop2_b32 v2, 1, v1 bitop3:0x40
	s_lshl_b64 s[4:5], s[2:3], 2
	v_lshrrev_b32_e32 v4, 1, v0
	s_mov_b32 s2, exec_lo
	s_delay_alu instid0(VALU_DEP_2)
	v_dual_mov_b32 v3, v1 :: v_dual_lshlrev_b32 v6, 2, v2
	s_wait_kmcnt 0x0
	s_add_nc_u64 s[0:1], s[0:1], s[4:5]
	global_load_b32 v5, v0, s[0:1] scale_offset
	s_wait_xcnt 0x0
	v_lshlrev_b32_e32 v0, 2, v0
	v_mad_u32_u24 v6, v4, 12, v6
	v_mul_u32_u24_e32 v4, 12, v4
	; wave barrier
	s_wait_loadcnt 0x0
	ds_store_b32 v6, v5
	; wave barrier
	v_cmpx_eq_u32_e32 1, v2
	s_cbranch_execz .LBB32_4
; %bb.1:
	v_dual_mov_b32 v5, 1 :: v_dual_mov_b32 v3, v1
.LBB32_2:                               ; =>This Inner Loop Header: Depth=1
	s_delay_alu instid0(VALU_DEP_1) | instskip(NEXT) | instid1(VALU_DEP_1)
	v_sub_nc_u32_e32 v6, v5, v3
	v_lshrrev_b32_e32 v6, 1, v6
	s_delay_alu instid0(VALU_DEP_1) | instskip(NEXT) | instid1(VALU_DEP_1)
	v_add_nc_u32_e32 v6, v6, v3
	v_dual_lshlrev_b32 v7, 2, v6 :: v_dual_add_nc_u32 v9, 1, v6
	s_delay_alu instid0(VALU_DEP_1)
	v_dual_add_nc_u32 v8, v4, v7 :: v_dual_sub_nc_u32 v7, v4, v7
	ds_load_b32 v8, v8
	ds_load_b32 v7, v7 offset:4
	s_wait_dscnt 0x0
	v_cmp_lt_u32_e32 vcc_lo, v7, v8
	v_cndmask_b32_e32 v3, v9, v3, vcc_lo
	v_cndmask_b32_e32 v5, v5, v6, vcc_lo
	s_delay_alu instid0(VALU_DEP_1) | instskip(SKIP_1) | instid1(SALU_CYCLE_1)
	v_cmp_ge_i32_e32 vcc_lo, v3, v5
	s_or_b32 s3, vcc_lo, s3
	s_and_not1_b32 exec_lo, exec_lo, s3
	s_cbranch_execnz .LBB32_2
; %bb.3:
	s_or_b32 exec_lo, exec_lo, s3
.LBB32_4:
	s_delay_alu instid0(SALU_CYCLE_1) | instskip(SKIP_4) | instid1(VALU_DEP_4)
	s_or_b32 exec_lo, exec_lo, s2
	v_sub_nc_u32_e32 v2, v2, v3
	v_lshl_add_u32 v5, v3, 2, v4
	v_add_nc_u64_e32 v[0:1], s[0:1], v[0:1]
	v_cmp_lt_i32_e32 vcc_lo, 0, v3
	v_lshl_add_u32 v4, v2, 2, v4
	v_add_nc_u32_e32 v2, 1, v2
	ds_load_b32 v5, v5
	ds_load_b32 v4, v4 offset:4
	v_cmp_gt_i32_e64 s1, 2, v2
	s_wait_dscnt 0x0
	v_cmp_lt_u32_e64 s0, v4, v5
	s_or_b32 s0, vcc_lo, s0
	s_delay_alu instid0(SALU_CYCLE_1)
	s_and_b32 vcc_lo, s1, s0
	v_cndmask_b32_e32 v2, v5, v4, vcc_lo
	global_store_b32 v[0:1], v2, off
	s_endpgm
	.section	.rodata,"a",@progbits
	.p2align	6, 0x0
	.amdhsa_kernel _Z14sort_keys_fullILj256ELj2ELj1ELb0EjN10test_utils4lessEEvPT3_T4_
		.amdhsa_group_segment_fixed_size 1536
		.amdhsa_private_segment_fixed_size 0
		.amdhsa_kernarg_size 12
		.amdhsa_user_sgpr_count 2
		.amdhsa_user_sgpr_dispatch_ptr 0
		.amdhsa_user_sgpr_queue_ptr 0
		.amdhsa_user_sgpr_kernarg_segment_ptr 1
		.amdhsa_user_sgpr_dispatch_id 0
		.amdhsa_user_sgpr_kernarg_preload_length 0
		.amdhsa_user_sgpr_kernarg_preload_offset 0
		.amdhsa_user_sgpr_private_segment_size 0
		.amdhsa_wavefront_size32 1
		.amdhsa_uses_dynamic_stack 0
		.amdhsa_enable_private_segment 0
		.amdhsa_system_sgpr_workgroup_id_x 1
		.amdhsa_system_sgpr_workgroup_id_y 0
		.amdhsa_system_sgpr_workgroup_id_z 0
		.amdhsa_system_sgpr_workgroup_info 0
		.amdhsa_system_vgpr_workitem_id 0
		.amdhsa_next_free_vgpr 10
		.amdhsa_next_free_sgpr 6
		.amdhsa_named_barrier_count 0
		.amdhsa_reserve_vcc 1
		.amdhsa_float_round_mode_32 0
		.amdhsa_float_round_mode_16_64 0
		.amdhsa_float_denorm_mode_32 3
		.amdhsa_float_denorm_mode_16_64 3
		.amdhsa_fp16_overflow 0
		.amdhsa_memory_ordered 1
		.amdhsa_forward_progress 1
		.amdhsa_inst_pref_size 3
		.amdhsa_round_robin_scheduling 0
		.amdhsa_exception_fp_ieee_invalid_op 0
		.amdhsa_exception_fp_denorm_src 0
		.amdhsa_exception_fp_ieee_div_zero 0
		.amdhsa_exception_fp_ieee_overflow 0
		.amdhsa_exception_fp_ieee_underflow 0
		.amdhsa_exception_fp_ieee_inexact 0
		.amdhsa_exception_int_div_zero 0
	.end_amdhsa_kernel
	.section	.text._Z14sort_keys_fullILj256ELj2ELj1ELb0EjN10test_utils4lessEEvPT3_T4_,"axG",@progbits,_Z14sort_keys_fullILj256ELj2ELj1ELb0EjN10test_utils4lessEEvPT3_T4_,comdat
.Lfunc_end32:
	.size	_Z14sort_keys_fullILj256ELj2ELj1ELb0EjN10test_utils4lessEEvPT3_T4_, .Lfunc_end32-_Z14sort_keys_fullILj256ELj2ELj1ELb0EjN10test_utils4lessEEvPT3_T4_
                                        ; -- End function
	.set _Z14sort_keys_fullILj256ELj2ELj1ELb0EjN10test_utils4lessEEvPT3_T4_.num_vgpr, 10
	.set _Z14sort_keys_fullILj256ELj2ELj1ELb0EjN10test_utils4lessEEvPT3_T4_.num_agpr, 0
	.set _Z14sort_keys_fullILj256ELj2ELj1ELb0EjN10test_utils4lessEEvPT3_T4_.numbered_sgpr, 6
	.set _Z14sort_keys_fullILj256ELj2ELj1ELb0EjN10test_utils4lessEEvPT3_T4_.num_named_barrier, 0
	.set _Z14sort_keys_fullILj256ELj2ELj1ELb0EjN10test_utils4lessEEvPT3_T4_.private_seg_size, 0
	.set _Z14sort_keys_fullILj256ELj2ELj1ELb0EjN10test_utils4lessEEvPT3_T4_.uses_vcc, 1
	.set _Z14sort_keys_fullILj256ELj2ELj1ELb0EjN10test_utils4lessEEvPT3_T4_.uses_flat_scratch, 0
	.set _Z14sort_keys_fullILj256ELj2ELj1ELb0EjN10test_utils4lessEEvPT3_T4_.has_dyn_sized_stack, 0
	.set _Z14sort_keys_fullILj256ELj2ELj1ELb0EjN10test_utils4lessEEvPT3_T4_.has_recursion, 0
	.set _Z14sort_keys_fullILj256ELj2ELj1ELb0EjN10test_utils4lessEEvPT3_T4_.has_indirect_call, 0
	.section	.AMDGPU.csdata,"",@progbits
; Kernel info:
; codeLenInByte = 380
; TotalNumSgprs: 8
; NumVgprs: 10
; ScratchSize: 0
; MemoryBound: 0
; FloatMode: 240
; IeeeMode: 1
; LDSByteSize: 1536 bytes/workgroup (compile time only)
; SGPRBlocks: 0
; VGPRBlocks: 0
; NumSGPRsForWavesPerEU: 8
; NumVGPRsForWavesPerEU: 10
; NamedBarCnt: 0
; Occupancy: 16
; WaveLimiterHint : 0
; COMPUTE_PGM_RSRC2:SCRATCH_EN: 0
; COMPUTE_PGM_RSRC2:USER_SGPR: 2
; COMPUTE_PGM_RSRC2:TRAP_HANDLER: 0
; COMPUTE_PGM_RSRC2:TGID_X_EN: 1
; COMPUTE_PGM_RSRC2:TGID_Y_EN: 0
; COMPUTE_PGM_RSRC2:TGID_Z_EN: 0
; COMPUTE_PGM_RSRC2:TIDIG_COMP_CNT: 0
	.section	.text._Z21sort_keys_values_fullILj256ELj32ELj7ELb0EiN10test_utils16custom_test_typeIsEENS0_7greaterEEvPT3_PT4_T5_,"axG",@progbits,_Z21sort_keys_values_fullILj256ELj32ELj7ELb0EiN10test_utils16custom_test_typeIsEENS0_7greaterEEvPT3_PT4_T5_,comdat
	.protected	_Z21sort_keys_values_fullILj256ELj32ELj7ELb0EiN10test_utils16custom_test_typeIsEENS0_7greaterEEvPT3_PT4_T5_ ; -- Begin function _Z21sort_keys_values_fullILj256ELj32ELj7ELb0EiN10test_utils16custom_test_typeIsEENS0_7greaterEEvPT3_PT4_T5_
	.globl	_Z21sort_keys_values_fullILj256ELj32ELj7ELb0EiN10test_utils16custom_test_typeIsEENS0_7greaterEEvPT3_PT4_T5_
	.p2align	8
	.type	_Z21sort_keys_values_fullILj256ELj32ELj7ELb0EiN10test_utils16custom_test_typeIsEENS0_7greaterEEvPT3_PT4_T5_,@function
_Z21sort_keys_values_fullILj256ELj32ELj7ELb0EiN10test_utils16custom_test_typeIsEENS0_7greaterEEvPT3_PT4_T5_: ; @_Z21sort_keys_values_fullILj256ELj32ELj7ELb0EiN10test_utils16custom_test_typeIsEENS0_7greaterEEvPT3_PT4_T5_
; %bb.0:
	s_load_b128 s[0:3], s[0:1], 0x0
	s_bfe_u32 s4, ttmp6, 0x4000c
	s_and_b32 s5, ttmp6, 15
	s_add_co_i32 s4, s4, 1
	s_getreg_b32 s6, hwreg(HW_REG_IB_STS2, 6, 4)
	s_mul_i32 s4, ttmp9, s4
	v_mul_u32_u24_e32 v1, 7, v0
	s_add_co_i32 s5, s5, s4
	s_cmp_eq_u32 s6, 0
	v_mov_b32_e32 v3, 0
	s_cselect_b32 s4, ttmp9, s5
	s_mov_b32 s5, 0
	s_mulk_i32 s4, 0x700
	v_lshlrev_b32_e32 v2, 2, v1
	s_lshl_b64 s[4:5], s[4:5], 2
	s_mov_b32 s9, exec_lo
	s_wait_kmcnt 0x0
	s_add_nc_u64 s[10:11], s[0:1], s[4:5]
	s_add_nc_u64 s[12:13], s[2:3], s[4:5]
	s_clause 0x1
	global_load_b128 v[4:7], v2, s[10:11]
	global_load_b128 v[8:11], v2, s[12:13]
	s_wait_loadcnt 0x0
	global_load_b32 v8, v1, s[12:13] scale_offset
	s_clause 0x2
	global_load_b96 v[12:14], v2, s[10:11] offset:16
	global_load_b96 v[16:18], v2, s[12:13] offset:16
	global_load_b32 v15, v1, s[12:13] offset:16 scale_offset
	v_cmp_gt_i32_e32 vcc_lo, v5, v4
	v_cmp_gt_i32_e64 s0, v7, v6
	s_wait_loadcnt 0x2
	v_cmp_gt_i32_e64 s1, v13, v12
	s_wait_loadcnt 0x1
	s_wait_xcnt 0x0
	v_dual_cndmask_b32 v1, v9, v8, vcc_lo :: v_dual_cndmask_b32 v16, v11, v10, s0
	s_wait_loadcnt 0x0
	v_dual_cndmask_b32 v19, v17, v15, s1 :: v_dual_cndmask_b32 v9, v8, v9, vcc_lo
	v_dual_cndmask_b32 v8, v4, v5, vcc_lo :: v_dual_cndmask_b32 v4, v5, v4, vcc_lo
	v_cndmask_b32_e64 v5, v10, v11, s0
	v_dual_cndmask_b32 v11, v6, v7, s0 :: v_dual_cndmask_b32 v6, v7, v6, s0
	v_cndmask_b32_e64 v7, v12, v13, s1
	v_dual_cndmask_b32 v15, v15, v17, s1 :: v_dual_cndmask_b32 v12, v13, v12, s1
	s_delay_alu instid0(VALU_DEP_3) | instskip(NEXT) | instid1(VALU_DEP_3)
	v_cmp_gt_i32_e32 vcc_lo, v11, v4
	v_cmp_gt_i32_e64 s0, v7, v6
	s_delay_alu instid0(VALU_DEP_3) | instskip(SKIP_1) | instid1(VALU_DEP_3)
	v_cmp_gt_i32_e64 s1, v14, v12
	v_cndmask_b32_e32 v13, v5, v1, vcc_lo
	v_dual_cndmask_b32 v10, v1, v5, vcc_lo :: v_dual_cndmask_b32 v17, v15, v16, s0
	v_dual_cndmask_b32 v1, v11, v4 :: v_dual_cndmask_b32 v4, v4, v11
	s_delay_alu instid0(VALU_DEP_4) | instskip(SKIP_4) | instid1(VALU_DEP_3)
	v_cndmask_b32_e64 v20, v18, v19, s1
	v_dual_cndmask_b32 v5, v16, v15, s0 :: v_dual_cndmask_b32 v15, v7, v6, s0
	v_dual_cndmask_b32 v6, v6, v7, s0 :: v_dual_cndmask_b32 v7, v19, v18, s1
	;; [unrolled: 1-line block ×3, first 2 shown]
	v_cmp_gt_i32_e32 vcc_lo, v4, v8
	v_cmp_gt_i32_e64 s0, v6, v1
	s_delay_alu instid0(VALU_DEP_3) | instskip(SKIP_1) | instid1(VALU_DEP_3)
	v_cmp_gt_i32_e64 s1, v14, v15
	v_dual_cndmask_b32 v11, v10, v9, vcc_lo :: v_dual_cndmask_b32 v21, v8, v4, vcc_lo
	v_dual_cndmask_b32 v16, v5, v13, s0 :: v_dual_cndmask_b32 v4, v4, v8, vcc_lo
	s_delay_alu instid0(VALU_DEP_3) | instskip(SKIP_4) | instid1(VALU_DEP_3)
	v_cndmask_b32_e64 v19, v7, v17, s1
	v_cndmask_b32_e64 v12, v13, v5, s0
	v_dual_cndmask_b32 v5, v1, v6, s0 :: v_dual_cndmask_b32 v1, v6, v1, s0
	v_dual_cndmask_b32 v7, v17, v7, s1 :: v_dual_cndmask_b32 v6, v15, v14, s1
	v_cndmask_b32_e64 v8, v14, v15, s1
	v_cmp_gt_i32_e64 s0, v5, v4
	s_delay_alu instid0(VALU_DEP_3) | instskip(NEXT) | instid1(VALU_DEP_2)
	v_cmp_gt_i32_e64 s1, v6, v1
	v_dual_cndmask_b32 v13, v12, v11, s0 :: v_dual_cndmask_b32 v22, v5, v4, s0
	s_delay_alu instid0(VALU_DEP_2) | instskip(SKIP_3) | instid1(VALU_DEP_4)
	v_dual_cndmask_b32 v4, v4, v5, s0 :: v_dual_cndmask_b32 v15, v7, v16, s1
	v_cmp_gt_i32_e64 s2, v18, v8
	v_dual_cndmask_b32 v16, v16, v7, s1 :: v_dual_cndmask_b32 v5, v6, v1, s1
	v_cndmask_b32_e64 v1, v1, v6, s1
	v_cmp_gt_i32_e64 s1, v4, v21
	s_delay_alu instid0(VALU_DEP_4) | instskip(SKIP_1) | instid1(VALU_DEP_4)
	v_dual_cndmask_b32 v14, v20, v19, s2 :: v_dual_cndmask_b32 v7, v18, v8, s2
	v_dual_cndmask_b32 v8, v8, v18, s2 :: v_dual_cndmask_b32 v6, v19, v20, s2
	v_cmp_gt_i32_e64 s2, v1, v22
	s_delay_alu instid0(VALU_DEP_4) | instskip(NEXT) | instid1(VALU_DEP_3)
	v_dual_cndmask_b32 v20, v21, v4, s1 :: v_dual_cndmask_b32 v4, v4, v21, s1
	v_cmp_gt_i32_e64 s3, v8, v5
	s_delay_alu instid0(VALU_DEP_3) | instskip(NEXT) | instid1(VALU_DEP_2)
	v_dual_cndmask_b32 v21, v22, v1, s2 :: v_dual_cndmask_b32 v22, v1, v22, s2
	v_dual_cndmask_b32 v17, v16, v13, s2 :: v_dual_cndmask_b32 v18, v6, v15, s3
	;; [unrolled: 1-line block ×3, first 2 shown]
	s_delay_alu instid0(VALU_DEP_3) | instskip(SKIP_1) | instid1(VALU_DEP_3)
	v_cmp_gt_i32_e64 s4, v21, v4
	v_cndmask_b32_e64 v5, v8, v5, s3
	v_cmp_gt_i32_e64 s5, v23, v22
	s_delay_alu instid0(VALU_DEP_3) | instskip(NEXT) | instid1(VALU_DEP_3)
	v_cndmask_b32_e64 v8, v21, v4, s4
	v_cmp_gt_i32_e64 s7, v7, v5
	s_delay_alu instid0(VALU_DEP_3) | instskip(SKIP_2) | instid1(VALU_DEP_4)
	v_dual_cndmask_b32 v24, v4, v21, s4 :: v_dual_cndmask_b32 v25, v22, v23, s5
	v_cndmask_b32_e64 v15, v19, v17, s5
	v_cndmask_b32_e64 v21, v23, v22, s5
	;; [unrolled: 1-line block ×3, first 2 shown]
	s_delay_alu instid0(VALU_DEP_4) | instskip(SKIP_2) | instid1(VALU_DEP_3)
	v_cmp_gt_i32_e64 s3, v24, v20
	v_cmp_gt_i32_e64 s6, v25, v8
	v_dual_cndmask_b32 v4, v7, v5, s7 :: v_dual_cndmask_b32 v5, v5, v7, s7
	v_cndmask_b32_e64 v6, v24, v20, s3
	s_delay_alu instid0(VALU_DEP_3) | instskip(SKIP_1) | instid1(VALU_DEP_4)
	v_dual_cndmask_b32 v7, v25, v8, s6 :: v_dual_cndmask_b32 v23, v8, v25, s6
	v_dual_cndmask_b32 v22, v20, v24, s3 :: v_dual_mov_b32 v20, v1
	v_cmpx_gt_i32_e64 v5, v21
; %bb.1:
	v_dual_mov_b32 v8, v21 :: v_dual_mov_b32 v20, v15
	v_swap_b32 v21, v5
	v_mov_b32_e32 v15, v1
; %bb.2:
	s_or_b32 exec_lo, exec_lo, s9
	v_mbcnt_lo_u32_b32 v8, -1, 0
	v_lshrrev_b32_e32 v24, 5, v0
	; wave barrier
	v_mov_b32_e32 v28, v3
	s_delay_alu instid0(VALU_DEP_3) | instskip(NEXT) | instid1(VALU_DEP_1)
	v_mul_u32_u24_e32 v1, 7, v8
	v_dual_lshlrev_b32 v0, 2, v1 :: v_dual_bitop2_b32 v25, 30, v8 bitop3:0x40
	s_delay_alu instid0(VALU_DEP_1) | instskip(NEXT) | instid1(VALU_DEP_1)
	v_mul_u32_u24_e32 v27, 7, v25
	v_dual_lshlrev_b32 v26, 2, v27 :: v_dual_bitop2_b32 v25, 1, v8 bitop3:0x40
	s_delay_alu instid0(VALU_DEP_3) | instskip(NEXT) | instid1(VALU_DEP_2)
	v_mad_u32_u24 v0, 0x384, v24, v0
	v_cmp_eq_u32_e64 s8, 1, v25
	ds_store_2addr_b32 v0, v22, v6 offset1:1
	ds_store_2addr_b32 v0, v23, v7 offset0:2 offset1:3
	ds_store_2addr_b32 v0, v21, v5 offset0:4 offset1:5
	ds_store_b32 v0, v4 offset:24
	v_mad_u32_u24 v25, 0x384, v24, v26
	; wave barrier
	s_and_saveexec_b32 s14, s8
	s_cbranch_execz .LBB33_6
; %bb.3:
	v_dual_mov_b32 v4, 7 :: v_dual_mov_b32 v28, 0
	s_mov_b32 s15, 0
.LBB33_4:                               ; =>This Inner Loop Header: Depth=1
	s_delay_alu instid0(VALU_DEP_1) | instskip(NEXT) | instid1(VALU_DEP_1)
	v_sub_nc_u32_e32 v5, v4, v28
	v_lshrrev_b32_e32 v5, 1, v5
	s_delay_alu instid0(VALU_DEP_1) | instskip(NEXT) | instid1(VALU_DEP_1)
	v_add_nc_u32_e32 v5, v5, v28
	v_dual_lshlrev_b32 v6, 2, v5 :: v_dual_add_nc_u32 v21, 1, v5
	s_delay_alu instid0(VALU_DEP_1) | instskip(SKIP_4) | instid1(VALU_DEP_1)
	v_dual_add_nc_u32 v7, v25, v6 :: v_dual_sub_nc_u32 v6, v25, v6
	ds_load_b32 v7, v7
	ds_load_b32 v6, v6 offset:52
	s_wait_dscnt 0x0
	v_cmp_gt_i32_e64 s9, v6, v7
	v_dual_cndmask_b32 v4, v4, v5, s9 :: v_dual_cndmask_b32 v28, v21, v28, s9
	s_delay_alu instid0(VALU_DEP_1) | instskip(SKIP_1) | instid1(SALU_CYCLE_1)
	v_cmp_ge_i32_e64 s9, v28, v4
	s_or_b32 s15, s9, s15
	s_and_not1_b32 exec_lo, exec_lo, s15
	s_cbranch_execnz .LBB33_4
; %bb.5:
	s_or_b32 exec_lo, exec_lo, s15
.LBB33_6:
	s_delay_alu instid0(SALU_CYCLE_1)
	s_or_b32 exec_lo, exec_lo, s14
	v_add_nc_u64_e32 v[6:7], s[10:11], v[2:3]
	v_add_nc_u64_e32 v[4:5], s[12:13], v[2:3]
	v_cndmask_b32_e64 v2, 0, 7, s8
	v_mul_u32_u24_e32 v3, 0x384, v24
	v_lshl_add_u32 v24, v28, 2, v25
	v_add_nc_u32_e32 v25, 7, v27
	v_cmp_lt_i32_e64 s8, 6, v28
	s_delay_alu instid0(VALU_DEP_2) | instskip(NEXT) | instid1(VALU_DEP_1)
	v_dual_add_nc_u32 v21, v27, v2 :: v_dual_add_nc_u32 v23, v25, v2
	v_dual_add_nc_u32 v2, 14, v27 :: v_dual_sub_nc_u32 v21, v21, v28
	s_delay_alu instid0(VALU_DEP_2) | instskip(NEXT) | instid1(VALU_DEP_2)
	v_sub_nc_u32_e32 v26, v23, v28
                                        ; implicit-def: $vgpr23
	v_lshl_add_u32 v29, v21, 2, v3
	ds_load_b32 v21, v24
	ds_load_b32 v22, v29 offset:28
	v_cmp_gt_i32_e64 s10, v2, v26
	s_wait_dscnt 0x0
	v_cmp_gt_i32_e64 s9, v22, v21
	s_or_b32 s8, s8, s9
	s_delay_alu instid0(SALU_CYCLE_1) | instskip(NEXT) | instid1(SALU_CYCLE_1)
	s_and_b32 s8, s10, s8
	s_xor_b32 s9, s8, -1
	s_delay_alu instid0(SALU_CYCLE_1) | instskip(NEXT) | instid1(SALU_CYCLE_1)
	s_and_saveexec_b32 s10, s9
	s_xor_b32 s9, exec_lo, s10
; %bb.7:
	ds_load_b32 v23, v24 offset:4
                                        ; implicit-def: $vgpr29
; %bb.8:
	s_or_saveexec_b32 s9, s9
	v_mov_b32_e32 v24, v22
	s_xor_b32 exec_lo, exec_lo, s9
	s_cbranch_execz .LBB33_10
; %bb.9:
	ds_load_b32 v24, v29 offset:32
	s_wait_dscnt 0x1
	v_mov_b32_e32 v23, v21
.LBB33_10:
	s_or_b32 exec_lo, exec_lo, s9
	v_dual_add_nc_u32 v27, v28, v27 :: v_dual_add_nc_u32 v29, 1, v26
	s_wait_dscnt 0x0
	s_delay_alu instid0(VALU_DEP_2) | instskip(NEXT) | instid1(VALU_DEP_2)
	v_cmp_gt_i32_e64 s10, v24, v23
                                        ; implicit-def: $vgpr30
	v_dual_add_nc_u32 v28, 1, v27 :: v_dual_cndmask_b32 v29, v26, v29, s8
	s_delay_alu instid0(VALU_DEP_1) | instskip(NEXT) | instid1(VALU_DEP_2)
	v_cndmask_b32_e64 v28, v28, v27, s8
	v_cmp_lt_i32_e64 s11, v29, v2
	s_delay_alu instid0(VALU_DEP_2) | instskip(SKIP_1) | instid1(SALU_CYCLE_1)
	v_cmp_ge_i32_e64 s9, v28, v25
	s_or_b32 s9, s9, s10
	s_and_b32 s9, s11, s9
	s_delay_alu instid0(SALU_CYCLE_1) | instskip(NEXT) | instid1(SALU_CYCLE_1)
	s_xor_b32 s10, s9, -1
	s_and_saveexec_b32 s11, s10
	s_delay_alu instid0(SALU_CYCLE_1)
	s_xor_b32 s10, exec_lo, s11
; %bb.11:
	v_lshl_add_u32 v30, v28, 2, v3
	ds_load_b32 v30, v30 offset:4
; %bb.12:
	s_or_saveexec_b32 s10, s10
	v_mov_b32_e32 v31, v24
	s_xor_b32 exec_lo, exec_lo, s10
	s_cbranch_execz .LBB33_14
; %bb.13:
	s_wait_dscnt 0x0
	v_lshl_add_u32 v30, v29, 2, v3
	ds_load_b32 v31, v30 offset:4
	v_mov_b32_e32 v30, v23
.LBB33_14:
	s_or_b32 exec_lo, exec_lo, s10
	v_dual_add_nc_u32 v32, 1, v28 :: v_dual_add_nc_u32 v33, 1, v29
	s_wait_dscnt 0x0
	s_delay_alu instid0(VALU_DEP_2) | instskip(NEXT) | instid1(VALU_DEP_2)
	v_cmp_gt_i32_e64 s11, v31, v30
                                        ; implicit-def: $vgpr34
	v_dual_cndmask_b32 v32, v32, v28, s9 :: v_dual_cndmask_b32 v33, v29, v33, s9
	s_delay_alu instid0(VALU_DEP_1) | instskip(NEXT) | instid1(VALU_DEP_2)
	v_cmp_ge_i32_e64 s10, v32, v25
	v_cmp_lt_i32_e64 s12, v33, v2
	s_or_b32 s10, s10, s11
	s_delay_alu instid0(SALU_CYCLE_1) | instskip(NEXT) | instid1(SALU_CYCLE_1)
	s_and_b32 s10, s12, s10
	s_xor_b32 s11, s10, -1
	s_delay_alu instid0(SALU_CYCLE_1) | instskip(NEXT) | instid1(SALU_CYCLE_1)
	s_and_saveexec_b32 s12, s11
	s_xor_b32 s11, exec_lo, s12
; %bb.15:
	v_lshl_add_u32 v34, v32, 2, v3
	ds_load_b32 v34, v34 offset:4
; %bb.16:
	s_or_saveexec_b32 s11, s11
	v_mov_b32_e32 v35, v31
	s_xor_b32 exec_lo, exec_lo, s11
	s_cbranch_execz .LBB33_18
; %bb.17:
	s_wait_dscnt 0x0
	v_lshl_add_u32 v34, v33, 2, v3
	ds_load_b32 v35, v34 offset:4
	v_mov_b32_e32 v34, v30
.LBB33_18:
	s_or_b32 exec_lo, exec_lo, s11
	v_dual_add_nc_u32 v36, 1, v32 :: v_dual_add_nc_u32 v37, 1, v33
	s_wait_dscnt 0x0
	s_delay_alu instid0(VALU_DEP_2) | instskip(NEXT) | instid1(VALU_DEP_2)
	v_cmp_gt_i32_e64 s12, v35, v34
                                        ; implicit-def: $vgpr38
	v_dual_cndmask_b32 v36, v36, v32, s10 :: v_dual_cndmask_b32 v37, v33, v37, s10
	s_delay_alu instid0(VALU_DEP_1) | instskip(NEXT) | instid1(VALU_DEP_2)
	v_cmp_ge_i32_e64 s11, v36, v25
	v_cmp_lt_i32_e64 s13, v37, v2
	s_or_b32 s11, s11, s12
	s_delay_alu instid0(SALU_CYCLE_1) | instskip(NEXT) | instid1(SALU_CYCLE_1)
	s_and_b32 s11, s13, s11
	s_xor_b32 s12, s11, -1
	s_delay_alu instid0(SALU_CYCLE_1) | instskip(NEXT) | instid1(SALU_CYCLE_1)
	s_and_saveexec_b32 s13, s12
	s_xor_b32 s12, exec_lo, s13
; %bb.19:
	v_lshl_add_u32 v38, v36, 2, v3
	ds_load_b32 v38, v38 offset:4
; %bb.20:
	s_or_saveexec_b32 s12, s12
	v_mov_b32_e32 v39, v35
	s_xor_b32 exec_lo, exec_lo, s12
	s_cbranch_execz .LBB33_22
; %bb.21:
	s_wait_dscnt 0x0
	v_lshl_add_u32 v38, v37, 2, v3
	ds_load_b32 v39, v38 offset:4
	v_mov_b32_e32 v38, v34
.LBB33_22:
	s_or_b32 exec_lo, exec_lo, s12
	v_dual_add_nc_u32 v40, 1, v36 :: v_dual_add_nc_u32 v41, 1, v37
	s_wait_dscnt 0x0
	s_delay_alu instid0(VALU_DEP_2) | instskip(NEXT) | instid1(VALU_DEP_2)
	v_cmp_gt_i32_e64 s13, v39, v38
                                        ; implicit-def: $vgpr43
	v_dual_cndmask_b32 v40, v40, v36, s11 :: v_dual_cndmask_b32 v41, v37, v41, s11
	s_delay_alu instid0(VALU_DEP_1) | instskip(NEXT) | instid1(VALU_DEP_2)
	v_cmp_ge_i32_e64 s12, v40, v25
	v_cmp_lt_i32_e64 s14, v41, v2
	s_or_b32 s12, s12, s13
	s_delay_alu instid0(SALU_CYCLE_1) | instskip(NEXT) | instid1(SALU_CYCLE_1)
	s_and_b32 s12, s14, s12
	s_xor_b32 s13, s12, -1
	s_delay_alu instid0(SALU_CYCLE_1) | instskip(NEXT) | instid1(SALU_CYCLE_1)
	s_and_saveexec_b32 s14, s13
	s_xor_b32 s13, exec_lo, s14
; %bb.23:
	v_lshl_add_u32 v42, v40, 2, v3
	ds_load_b32 v43, v42 offset:4
; %bb.24:
	s_or_saveexec_b32 s13, s13
	v_mov_b32_e32 v45, v39
	s_xor_b32 exec_lo, exec_lo, s13
	s_cbranch_execz .LBB33_26
; %bb.25:
	v_lshl_add_u32 v42, v41, 2, v3
	s_wait_dscnt 0x0
	v_mov_b32_e32 v43, v38
	ds_load_b32 v45, v42 offset:4
.LBB33_26:
	s_or_b32 exec_lo, exec_lo, s13
	v_dual_add_nc_u32 v42, 1, v40 :: v_dual_add_nc_u32 v44, 1, v41
	s_wait_dscnt 0x0
	v_cmp_gt_i32_e64 s14, v45, v43
	s_delay_alu instid0(VALU_DEP_2) | instskip(NEXT) | instid1(VALU_DEP_3)
	v_cndmask_b32_e64 v46, v42, v40, s12
	v_cndmask_b32_e64 v47, v41, v44, s12
                                        ; implicit-def: $vgpr42
	s_delay_alu instid0(VALU_DEP_2) | instskip(NEXT) | instid1(VALU_DEP_2)
	v_cmp_ge_i32_e64 s13, v46, v25
	v_cmp_lt_i32_e64 s15, v47, v2
	s_or_b32 s13, s13, s14
	s_delay_alu instid0(SALU_CYCLE_1) | instskip(NEXT) | instid1(SALU_CYCLE_1)
	s_and_b32 s13, s15, s13
	s_xor_b32 s14, s13, -1
	s_delay_alu instid0(SALU_CYCLE_1) | instskip(NEXT) | instid1(SALU_CYCLE_1)
	s_and_saveexec_b32 s15, s14
	s_xor_b32 s14, exec_lo, s15
; %bb.27:
	v_lshl_add_u32 v42, v46, 2, v3
	ds_load_b32 v42, v42 offset:4
; %bb.28:
	s_or_saveexec_b32 s14, s14
	v_mov_b32_e32 v44, v45
	s_xor_b32 exec_lo, exec_lo, s14
	s_cbranch_execz .LBB33_30
; %bb.29:
	s_wait_dscnt 0x0
	v_lshl_add_u32 v42, v47, 2, v3
	ds_load_b32 v44, v42 offset:4
	v_mov_b32_e32 v42, v43
.LBB33_30:
	s_or_b32 exec_lo, exec_lo, s14
	v_dual_cndmask_b32 v38, v38, v39, s12 :: v_dual_cndmask_b32 v9, v9, v10, vcc_lo
	v_dual_cndmask_b32 v10, v11, v12, s0 :: v_dual_cndmask_b32 v39, v40, v41, s12
	v_dual_add_nc_u32 v48, 1, v47 :: v_dual_add_nc_u32 v49, 1, v46
	v_dual_cndmask_b32 v30, v30, v31, s10 :: v_dual_cndmask_b32 v12, v13, v16, s2
	s_delay_alu instid0(VALU_DEP_3) | instskip(SKIP_1) | instid1(VALU_DEP_4)
	v_dual_cndmask_b32 v11, v10, v9, s1 :: v_dual_cndmask_b32 v26, v27, v26, s8
	v_dual_cndmask_b32 v43, v43, v45, s13 :: v_dual_cndmask_b32 v45, v46, v47, s13
	;; [unrolled: 1-line block ×4, first 2 shown]
	v_cndmask_b32_e64 v28, v28, v29, s9
	v_dual_cndmask_b32 v10, v12, v11, s4 :: v_dual_cndmask_b32 v14, v14, v18, s7
	v_dual_cndmask_b32 v11, v11, v12, s4 :: v_dual_cndmask_b32 v12, v17, v19, s5
	v_cmp_ge_i32_e32 vcc_lo, v46, v25
	s_wait_dscnt 0x0
	v_cmp_gt_i32_e64 s0, v44, v42
	v_cmp_lt_i32_e64 s1, v47, v2
	v_dual_cndmask_b32 v17, v11, v9, s3 :: v_dual_cndmask_b32 v2, v12, v10, s6
	v_cndmask_b32_e64 v18, v10, v12, s6
	s_or_b32 s0, vcc_lo, s0
	v_dual_cndmask_b32 v34, v34, v35, s11 :: v_dual_cndmask_b32 v35, v36, v37, s11
	s_and_b32 vcc_lo, s1, s0
	s_delay_alu instid0(SALU_CYCLE_1)
	v_dual_cndmask_b32 v9, v9, v11, s3 :: v_dual_cndmask_b32 v19, v42, v44, vcc_lo
	v_alignbit_b32 v10, v2, v18, 16
	v_alignbit_b32 v11, v15, v2, 16
	;; [unrolled: 1-line block ×4, first 2 shown]
	v_dual_cndmask_b32 v25, v46, v47, vcc_lo :: v_dual_bitop2_b32 v15, 28, v8 bitop3:0x40
	v_lshl_add_u32 v2, v26, 2, v3
	; wave barrier
	ds_store_2addr_b32 v0, v9, v17 offset1:1
	ds_store_b16 v0, v18 offset:8
	ds_store_b128 v0, v[10:13] offset:10
	ds_store_b16_d16_hi v0, v14 offset:26
	v_lshl_add_u32 v9, v28, 2, v3
	v_lshl_add_u32 v10, v16, 2, v3
	;; [unrolled: 1-line block ×6, first 2 shown]
	; wave barrier
	ds_load_b32 v2, v2
	ds_load_b32 v9, v9
	;; [unrolled: 1-line block ×7, first 2 shown]
	v_and_b32_e32 v16, 3, v8
	v_cndmask_b32_e64 v20, v23, v24, s9
	v_mul_u32_u24_e32 v23, 7, v15
	s_mov_b32 s1, 0
	s_mov_b32 s0, exec_lo
	v_mad_u32_u24 v18, v16, 7, -14
	v_cmp_lt_u32_e32 vcc_lo, 1, v16
	v_lshl_add_u32 v15, v23, 2, v3
	; wave barrier
	s_delay_alu instid0(VALU_DEP_3)
	v_cndmask_b32_e32 v24, 0, v18, vcc_lo
	v_mul_u32_u24_e32 v17, 7, v16
	v_cndmask_b32_e64 v18, v21, v22, s8
	ds_store_2addr_b32 v0, v18, v20 offset1:1
	ds_store_2addr_b32 v0, v30, v34 offset0:2 offset1:3
	ds_store_2addr_b32 v0, v38, v43 offset0:4 offset1:5
	ds_store_b32 v0, v19 offset:24
	v_min_u32_e32 v16, 14, v17
	; wave barrier
	s_delay_alu instid0(VALU_DEP_1)
	v_cmpx_lt_i32_e64 v24, v16
	s_cbranch_execz .LBB33_34
; %bb.31:
	v_lshl_add_u32 v18, v17, 2, v15
.LBB33_32:                              ; =>This Inner Loop Header: Depth=1
	v_sub_nc_u32_e32 v19, v16, v24
	s_delay_alu instid0(VALU_DEP_1) | instskip(NEXT) | instid1(VALU_DEP_1)
	v_lshrrev_b32_e32 v19, 1, v19
	v_add_nc_u32_e32 v19, v19, v24
	s_delay_alu instid0(VALU_DEP_1) | instskip(SKIP_1) | instid1(VALU_DEP_2)
	v_not_b32_e32 v20, v19
	v_lshl_add_u32 v21, v19, 2, v15
	v_lshl_add_u32 v20, v20, 2, v18
	ds_load_b32 v21, v21
	ds_load_b32 v20, v20 offset:56
	s_wait_dscnt 0x0
	v_cmp_gt_i32_e32 vcc_lo, v20, v21
	v_dual_add_nc_u32 v22, 1, v19 :: v_dual_cndmask_b32 v16, v16, v19, vcc_lo
	s_delay_alu instid0(VALU_DEP_1) | instskip(NEXT) | instid1(VALU_DEP_1)
	v_cndmask_b32_e32 v24, v22, v24, vcc_lo
	v_cmp_ge_i32_e32 vcc_lo, v24, v16
	s_or_b32 s1, vcc_lo, s1
	s_delay_alu instid0(SALU_CYCLE_1)
	s_and_not1_b32 exec_lo, exec_lo, s1
	s_cbranch_execnz .LBB33_32
; %bb.33:
	s_or_b32 exec_lo, exec_lo, s1
.LBB33_34:
	s_delay_alu instid0(SALU_CYCLE_1) | instskip(SKIP_3) | instid1(VALU_DEP_3)
	s_or_b32 exec_lo, exec_lo, s0
	v_dual_add_nc_u32 v16, v23, v17 :: v_dual_add_nc_u32 v21, 14, v23
	v_lshl_add_u32 v18, v24, 2, v15
	v_cmp_lt_i32_e32 vcc_lo, 13, v24
	v_dual_sub_nc_u32 v16, v16, v24 :: v_dual_add_nc_u32 v17, v21, v17
	v_add_nc_u32_e32 v20, 28, v23
	s_delay_alu instid0(VALU_DEP_2) | instskip(NEXT) | instid1(VALU_DEP_3)
	v_lshl_add_u32 v22, v16, 2, v3
	v_sub_nc_u32_e32 v19, v17, v24
                                        ; implicit-def: $vgpr17
	ds_load_b32 v15, v18
	ds_load_b32 v16, v22 offset:56
	v_cmp_gt_i32_e64 s1, v20, v19
	s_wait_dscnt 0x0
	v_cmp_gt_i32_e64 s0, v16, v15
	s_or_b32 s0, vcc_lo, s0
	s_delay_alu instid0(SALU_CYCLE_1) | instskip(NEXT) | instid1(SALU_CYCLE_1)
	s_and_b32 vcc_lo, s1, s0
	s_xor_b32 s0, vcc_lo, -1
	s_delay_alu instid0(SALU_CYCLE_1) | instskip(NEXT) | instid1(SALU_CYCLE_1)
	s_and_saveexec_b32 s1, s0
	s_xor_b32 s0, exec_lo, s1
; %bb.35:
	ds_load_b32 v17, v18 offset:4
                                        ; implicit-def: $vgpr22
; %bb.36:
	s_or_saveexec_b32 s0, s0
	v_mov_b32_e32 v18, v16
	s_xor_b32 exec_lo, exec_lo, s0
	s_cbranch_execz .LBB33_38
; %bb.37:
	ds_load_b32 v18, v22 offset:60
	s_wait_dscnt 0x1
	v_mov_b32_e32 v17, v15
.LBB33_38:
	s_or_b32 exec_lo, exec_lo, s0
	v_add_nc_u32_e32 v22, v24, v23
	v_add_nc_u32_e32 v24, 1, v19
	s_wait_dscnt 0x0
	v_cmp_gt_i32_e64 s1, v18, v17
                                        ; implicit-def: $vgpr25
	s_delay_alu instid0(VALU_DEP_2) | instskip(NEXT) | instid1(VALU_DEP_1)
	v_dual_cndmask_b32 v24, v19, v24 :: v_dual_add_nc_u32 v23, 1, v22
	v_cmp_lt_i32_e64 s2, v24, v20
	s_delay_alu instid0(VALU_DEP_2) | instskip(NEXT) | instid1(VALU_DEP_1)
	v_cndmask_b32_e32 v23, v23, v22, vcc_lo
	v_cmp_ge_i32_e64 s0, v23, v21
	s_or_b32 s0, s0, s1
	s_delay_alu instid0(SALU_CYCLE_1) | instskip(NEXT) | instid1(SALU_CYCLE_1)
	s_and_b32 s0, s2, s0
	s_xor_b32 s1, s0, -1
	s_delay_alu instid0(SALU_CYCLE_1) | instskip(NEXT) | instid1(SALU_CYCLE_1)
	s_and_saveexec_b32 s2, s1
	s_xor_b32 s1, exec_lo, s2
; %bb.39:
	v_lshl_add_u32 v25, v23, 2, v3
	ds_load_b32 v25, v25 offset:4
; %bb.40:
	s_or_saveexec_b32 s1, s1
	v_mov_b32_e32 v26, v18
	s_xor_b32 exec_lo, exec_lo, s1
	s_cbranch_execz .LBB33_42
; %bb.41:
	s_wait_dscnt 0x0
	v_lshl_add_u32 v25, v24, 2, v3
	ds_load_b32 v26, v25 offset:4
	v_mov_b32_e32 v25, v17
.LBB33_42:
	s_or_b32 exec_lo, exec_lo, s1
	v_dual_add_nc_u32 v27, 1, v23 :: v_dual_add_nc_u32 v28, 1, v24
	s_wait_dscnt 0x0
	s_delay_alu instid0(VALU_DEP_2) | instskip(NEXT) | instid1(VALU_DEP_2)
	v_cmp_gt_i32_e64 s2, v26, v25
                                        ; implicit-def: $vgpr29
	v_dual_cndmask_b32 v27, v27, v23, s0 :: v_dual_cndmask_b32 v28, v24, v28, s0
	s_delay_alu instid0(VALU_DEP_1) | instskip(NEXT) | instid1(VALU_DEP_2)
	v_cmp_ge_i32_e64 s1, v27, v21
	v_cmp_lt_i32_e64 s3, v28, v20
	s_or_b32 s1, s1, s2
	s_delay_alu instid0(SALU_CYCLE_1) | instskip(NEXT) | instid1(SALU_CYCLE_1)
	s_and_b32 s1, s3, s1
	s_xor_b32 s2, s1, -1
	s_delay_alu instid0(SALU_CYCLE_1) | instskip(NEXT) | instid1(SALU_CYCLE_1)
	s_and_saveexec_b32 s3, s2
	s_xor_b32 s2, exec_lo, s3
; %bb.43:
	v_lshl_add_u32 v29, v27, 2, v3
	ds_load_b32 v29, v29 offset:4
; %bb.44:
	s_or_saveexec_b32 s2, s2
	v_mov_b32_e32 v30, v26
	s_xor_b32 exec_lo, exec_lo, s2
	s_cbranch_execz .LBB33_46
; %bb.45:
	s_wait_dscnt 0x0
	v_lshl_add_u32 v29, v28, 2, v3
	ds_load_b32 v30, v29 offset:4
	v_mov_b32_e32 v29, v25
.LBB33_46:
	s_or_b32 exec_lo, exec_lo, s2
	v_dual_add_nc_u32 v31, 1, v27 :: v_dual_add_nc_u32 v32, 1, v28
	s_wait_dscnt 0x0
	s_delay_alu instid0(VALU_DEP_2) | instskip(NEXT) | instid1(VALU_DEP_2)
	v_cmp_gt_i32_e64 s3, v30, v29
                                        ; implicit-def: $vgpr33
	v_dual_cndmask_b32 v31, v31, v27, s1 :: v_dual_cndmask_b32 v32, v28, v32, s1
	s_delay_alu instid0(VALU_DEP_1) | instskip(NEXT) | instid1(VALU_DEP_2)
	v_cmp_ge_i32_e64 s2, v31, v21
	v_cmp_lt_i32_e64 s4, v32, v20
	s_or_b32 s2, s2, s3
	s_delay_alu instid0(SALU_CYCLE_1) | instskip(NEXT) | instid1(SALU_CYCLE_1)
	s_and_b32 s2, s4, s2
	s_xor_b32 s3, s2, -1
	s_delay_alu instid0(SALU_CYCLE_1) | instskip(NEXT) | instid1(SALU_CYCLE_1)
	s_and_saveexec_b32 s4, s3
	s_xor_b32 s3, exec_lo, s4
; %bb.47:
	v_lshl_add_u32 v33, v31, 2, v3
	ds_load_b32 v33, v33 offset:4
; %bb.48:
	s_or_saveexec_b32 s3, s3
	v_mov_b32_e32 v34, v30
	s_xor_b32 exec_lo, exec_lo, s3
	s_cbranch_execz .LBB33_50
; %bb.49:
	s_wait_dscnt 0x0
	v_lshl_add_u32 v33, v32, 2, v3
	ds_load_b32 v34, v33 offset:4
	v_mov_b32_e32 v33, v29
.LBB33_50:
	s_or_b32 exec_lo, exec_lo, s3
	v_dual_add_nc_u32 v35, 1, v31 :: v_dual_add_nc_u32 v36, 1, v32
	s_wait_dscnt 0x0
	s_delay_alu instid0(VALU_DEP_2) | instskip(NEXT) | instid1(VALU_DEP_2)
	v_cmp_gt_i32_e64 s4, v34, v33
                                        ; implicit-def: $vgpr37
	v_dual_cndmask_b32 v35, v35, v31, s2 :: v_dual_cndmask_b32 v36, v32, v36, s2
	s_delay_alu instid0(VALU_DEP_1) | instskip(NEXT) | instid1(VALU_DEP_2)
	v_cmp_ge_i32_e64 s3, v35, v21
	v_cmp_lt_i32_e64 s5, v36, v20
	s_or_b32 s3, s3, s4
	s_delay_alu instid0(SALU_CYCLE_1) | instskip(NEXT) | instid1(SALU_CYCLE_1)
	s_and_b32 s3, s5, s3
	s_xor_b32 s4, s3, -1
	s_delay_alu instid0(SALU_CYCLE_1) | instskip(NEXT) | instid1(SALU_CYCLE_1)
	s_and_saveexec_b32 s5, s4
	s_xor_b32 s4, exec_lo, s5
; %bb.51:
	v_lshl_add_u32 v37, v35, 2, v3
	ds_load_b32 v37, v37 offset:4
; %bb.52:
	s_or_saveexec_b32 s4, s4
	v_mov_b32_e32 v38, v34
	s_xor_b32 exec_lo, exec_lo, s4
	s_cbranch_execz .LBB33_54
; %bb.53:
	s_wait_dscnt 0x0
	v_lshl_add_u32 v37, v36, 2, v3
	ds_load_b32 v38, v37 offset:4
	v_mov_b32_e32 v37, v33
.LBB33_54:
	s_or_b32 exec_lo, exec_lo, s4
	v_dual_add_nc_u32 v39, 1, v35 :: v_dual_add_nc_u32 v40, 1, v36
	s_wait_dscnt 0x0
	s_delay_alu instid0(VALU_DEP_2) | instskip(NEXT) | instid1(VALU_DEP_2)
	v_cmp_gt_i32_e64 s5, v38, v37
	v_dual_cndmask_b32 v41, v39, v35, s3 :: v_dual_cndmask_b32 v40, v36, v40, s3
                                        ; implicit-def: $vgpr39
	s_delay_alu instid0(VALU_DEP_1) | instskip(NEXT) | instid1(VALU_DEP_2)
	v_cmp_ge_i32_e64 s4, v41, v21
	v_cmp_lt_i32_e64 s6, v40, v20
	s_or_b32 s4, s4, s5
	s_delay_alu instid0(SALU_CYCLE_1) | instskip(NEXT) | instid1(SALU_CYCLE_1)
	s_and_b32 s4, s6, s4
	s_xor_b32 s5, s4, -1
	s_delay_alu instid0(SALU_CYCLE_1) | instskip(NEXT) | instid1(SALU_CYCLE_1)
	s_and_saveexec_b32 s6, s5
	s_xor_b32 s5, exec_lo, s6
; %bb.55:
	v_lshl_add_u32 v39, v41, 2, v3
	ds_load_b32 v39, v39 offset:4
; %bb.56:
	s_or_saveexec_b32 s5, s5
	v_mov_b32_e32 v42, v38
	s_xor_b32 exec_lo, exec_lo, s5
	s_cbranch_execz .LBB33_58
; %bb.57:
	s_wait_dscnt 0x0
	v_lshl_add_u32 v39, v40, 2, v3
	ds_load_b32 v42, v39 offset:4
	v_mov_b32_e32 v39, v37
.LBB33_58:
	s_or_b32 exec_lo, exec_lo, s5
	v_dual_add_nc_u32 v43, 1, v41 :: v_dual_cndmask_b32 v37, v37, v38, s4
	v_dual_add_nc_u32 v38, 1, v40 :: v_dual_cndmask_b32 v44, v41, v40, s4
	s_delay_alu instid0(VALU_DEP_2) | instskip(SKIP_1) | instid1(VALU_DEP_3)
	v_dual_cndmask_b32 v33, v33, v34, s3 :: v_dual_cndmask_b32 v34, v43, v41, s4
	v_dual_cndmask_b32 v35, v35, v36, s3 :: v_dual_cndmask_b32 v29, v29, v30, s2
	;; [unrolled: 1-line block ×3, first 2 shown]
	s_delay_alu instid0(VALU_DEP_3)
	v_cmp_ge_i32_e64 s2, v34, v21
	s_wait_dscnt 0x0
	v_cmp_gt_i32_e64 s3, v42, v39
	v_cndmask_b32_e64 v21, v25, v26, s1
	v_cmp_lt_i32_e64 s4, v30, v20
	v_cndmask_b32_e64 v20, v27, v28, s1
	v_dual_cndmask_b32 v23, v23, v24, s0 :: v_dual_cndmask_b32 v19, v22, v19, vcc_lo
	s_or_b32 s1, s2, s3
	s_delay_alu instid0(SALU_CYCLE_1) | instskip(NEXT) | instid1(SALU_CYCLE_1)
	s_and_b32 s1, s4, s1
	; wave barrier
	v_cndmask_b32_e64 v22, v34, v30, s1
	ds_store_2addr_b32 v0, v2, v9 offset1:1
	ds_store_2addr_b32 v0, v10, v11 offset0:2 offset1:3
	ds_store_2addr_b32 v0, v12, v13 offset0:4 offset1:5
	ds_store_b32 v0, v14 offset:24
	v_lshl_add_u32 v2, v19, 2, v3
	v_lshl_add_u32 v9, v23, 2, v3
	;; [unrolled: 1-line block ×6, first 2 shown]
	v_and_b32_e32 v23, 7, v8
	v_lshl_add_u32 v14, v22, 2, v3
	; wave barrier
	ds_load_b32 v2, v2
	ds_load_b32 v9, v9
	;; [unrolled: 1-line block ×7, first 2 shown]
	v_dual_cndmask_b32 v24, v39, v42, s1 :: v_dual_bitop2_b32 v20, 24, v8 bitop3:0x40
	v_mad_u32_u24 v25, v23, 7, 0xffffffe4
	v_mul_u32_u24_e32 v19, 7, v23
	v_cndmask_b32_e64 v18, v17, v18, s0
	v_cmp_lt_u32_e64 s0, 3, v23
	v_mul_u32_u24_e32 v22, 7, v20
	v_cndmask_b32_e32 v16, v15, v16, vcc_lo
	v_min_u32_e32 v17, 28, v19
	s_mov_b32 s1, 0
	v_cndmask_b32_e64 v23, 0, v25, s0
	v_lshl_add_u32 v15, v22, 2, v3
	s_mov_b32 s0, exec_lo
	; wave barrier
	ds_store_2addr_b32 v0, v16, v18 offset1:1
	ds_store_2addr_b32 v0, v21, v29 offset0:2 offset1:3
	ds_store_2addr_b32 v0, v33, v37 offset0:4 offset1:5
	ds_store_b32 v0, v24 offset:24
	; wave barrier
	v_cmpx_lt_i32_e64 v23, v17
	s_cbranch_execz .LBB33_62
; %bb.59:
	v_lshl_add_u32 v16, v19, 2, v15
.LBB33_60:                              ; =>This Inner Loop Header: Depth=1
	v_sub_nc_u32_e32 v18, v17, v23
	s_delay_alu instid0(VALU_DEP_1) | instskip(NEXT) | instid1(VALU_DEP_1)
	v_lshrrev_b32_e32 v18, 1, v18
	v_add_nc_u32_e32 v18, v18, v23
	s_delay_alu instid0(VALU_DEP_1) | instskip(SKIP_1) | instid1(VALU_DEP_2)
	v_not_b32_e32 v20, v18
	v_lshl_add_u32 v21, v18, 2, v15
	v_lshl_add_u32 v20, v20, 2, v16
	ds_load_b32 v21, v21
	ds_load_b32 v20, v20 offset:112
	s_wait_dscnt 0x0
	v_cmp_gt_i32_e32 vcc_lo, v20, v21
	v_dual_cndmask_b32 v17, v17, v18 :: v_dual_add_nc_u32 v24, 1, v18
	s_delay_alu instid0(VALU_DEP_1) | instskip(NEXT) | instid1(VALU_DEP_1)
	v_cndmask_b32_e32 v23, v24, v23, vcc_lo
	v_cmp_ge_i32_e32 vcc_lo, v23, v17
	s_or_b32 s1, vcc_lo, s1
	s_delay_alu instid0(SALU_CYCLE_1)
	s_and_not1_b32 exec_lo, exec_lo, s1
	s_cbranch_execnz .LBB33_60
; %bb.61:
	s_or_b32 exec_lo, exec_lo, s1
.LBB33_62:
	s_delay_alu instid0(SALU_CYCLE_1) | instskip(SKIP_3) | instid1(VALU_DEP_3)
	s_or_b32 exec_lo, exec_lo, s0
	v_dual_add_nc_u32 v16, v22, v19 :: v_dual_add_nc_u32 v21, 28, v22
	v_lshl_add_u32 v18, v23, 2, v15
	v_cmp_lt_i32_e32 vcc_lo, 27, v23
	v_dual_add_nc_u32 v20, 56, v22 :: v_dual_sub_nc_u32 v16, v16, v23
	s_delay_alu instid0(VALU_DEP_4) | instskip(NEXT) | instid1(VALU_DEP_2)
	v_add_nc_u32_e32 v17, v21, v19
	v_lshl_add_u32 v24, v16, 2, v3
	s_delay_alu instid0(VALU_DEP_2)
	v_sub_nc_u32_e32 v19, v17, v23
                                        ; implicit-def: $vgpr17
	ds_load_b32 v15, v18
	ds_load_b32 v16, v24 offset:112
	v_cmp_gt_i32_e64 s1, v20, v19
	s_wait_dscnt 0x0
	v_cmp_gt_i32_e64 s0, v16, v15
	s_or_b32 s0, vcc_lo, s0
	s_delay_alu instid0(SALU_CYCLE_1) | instskip(NEXT) | instid1(SALU_CYCLE_1)
	s_and_b32 vcc_lo, s1, s0
	s_xor_b32 s0, vcc_lo, -1
	s_delay_alu instid0(SALU_CYCLE_1) | instskip(NEXT) | instid1(SALU_CYCLE_1)
	s_and_saveexec_b32 s1, s0
	s_xor_b32 s0, exec_lo, s1
; %bb.63:
	ds_load_b32 v17, v18 offset:4
                                        ; implicit-def: $vgpr24
; %bb.64:
	s_or_saveexec_b32 s0, s0
	v_mov_b32_e32 v18, v16
	s_xor_b32 exec_lo, exec_lo, s0
	s_cbranch_execz .LBB33_66
; %bb.65:
	ds_load_b32 v18, v24 offset:116
	s_wait_dscnt 0x1
	v_mov_b32_e32 v17, v15
.LBB33_66:
	s_or_b32 exec_lo, exec_lo, s0
	v_dual_add_nc_u32 v22, v23, v22 :: v_dual_add_nc_u32 v24, 1, v19
	s_wait_dscnt 0x0
	s_delay_alu instid0(VALU_DEP_2) | instskip(NEXT) | instid1(VALU_DEP_2)
	v_cmp_gt_i32_e64 s1, v18, v17
                                        ; implicit-def: $vgpr25
	v_dual_cndmask_b32 v24, v19, v24 :: v_dual_add_nc_u32 v23, 1, v22
	s_delay_alu instid0(VALU_DEP_1) | instskip(NEXT) | instid1(VALU_DEP_2)
	v_cndmask_b32_e32 v23, v23, v22, vcc_lo
	v_cmp_lt_i32_e64 s2, v24, v20
	s_delay_alu instid0(VALU_DEP_2) | instskip(SKIP_1) | instid1(SALU_CYCLE_1)
	v_cmp_ge_i32_e64 s0, v23, v21
	s_or_b32 s0, s0, s1
	s_and_b32 s0, s2, s0
	s_delay_alu instid0(SALU_CYCLE_1) | instskip(NEXT) | instid1(SALU_CYCLE_1)
	s_xor_b32 s1, s0, -1
	s_and_saveexec_b32 s2, s1
	s_delay_alu instid0(SALU_CYCLE_1)
	s_xor_b32 s1, exec_lo, s2
; %bb.67:
	v_lshl_add_u32 v25, v23, 2, v3
	ds_load_b32 v25, v25 offset:4
; %bb.68:
	s_or_saveexec_b32 s1, s1
	v_mov_b32_e32 v26, v18
	s_xor_b32 exec_lo, exec_lo, s1
	s_cbranch_execz .LBB33_70
; %bb.69:
	s_wait_dscnt 0x0
	v_lshl_add_u32 v25, v24, 2, v3
	ds_load_b32 v26, v25 offset:4
	v_mov_b32_e32 v25, v17
.LBB33_70:
	s_or_b32 exec_lo, exec_lo, s1
	v_dual_add_nc_u32 v27, 1, v23 :: v_dual_add_nc_u32 v28, 1, v24
	s_wait_dscnt 0x0
	s_delay_alu instid0(VALU_DEP_2) | instskip(NEXT) | instid1(VALU_DEP_2)
	v_cmp_gt_i32_e64 s2, v26, v25
                                        ; implicit-def: $vgpr29
	v_dual_cndmask_b32 v27, v27, v23, s0 :: v_dual_cndmask_b32 v28, v24, v28, s0
	s_delay_alu instid0(VALU_DEP_1) | instskip(NEXT) | instid1(VALU_DEP_2)
	v_cmp_ge_i32_e64 s1, v27, v21
	v_cmp_lt_i32_e64 s3, v28, v20
	s_or_b32 s1, s1, s2
	s_delay_alu instid0(SALU_CYCLE_1) | instskip(NEXT) | instid1(SALU_CYCLE_1)
	s_and_b32 s1, s3, s1
	s_xor_b32 s2, s1, -1
	s_delay_alu instid0(SALU_CYCLE_1) | instskip(NEXT) | instid1(SALU_CYCLE_1)
	s_and_saveexec_b32 s3, s2
	s_xor_b32 s2, exec_lo, s3
; %bb.71:
	v_lshl_add_u32 v29, v27, 2, v3
	ds_load_b32 v29, v29 offset:4
; %bb.72:
	s_or_saveexec_b32 s2, s2
	v_mov_b32_e32 v30, v26
	s_xor_b32 exec_lo, exec_lo, s2
	s_cbranch_execz .LBB33_74
; %bb.73:
	s_wait_dscnt 0x0
	v_lshl_add_u32 v29, v28, 2, v3
	ds_load_b32 v30, v29 offset:4
	v_mov_b32_e32 v29, v25
.LBB33_74:
	s_or_b32 exec_lo, exec_lo, s2
	v_dual_add_nc_u32 v31, 1, v27 :: v_dual_add_nc_u32 v32, 1, v28
	s_wait_dscnt 0x0
	s_delay_alu instid0(VALU_DEP_2) | instskip(NEXT) | instid1(VALU_DEP_2)
	v_cmp_gt_i32_e64 s3, v30, v29
                                        ; implicit-def: $vgpr33
	v_dual_cndmask_b32 v31, v31, v27, s1 :: v_dual_cndmask_b32 v32, v28, v32, s1
	s_delay_alu instid0(VALU_DEP_1) | instskip(NEXT) | instid1(VALU_DEP_2)
	v_cmp_ge_i32_e64 s2, v31, v21
	v_cmp_lt_i32_e64 s4, v32, v20
	s_or_b32 s2, s2, s3
	s_delay_alu instid0(SALU_CYCLE_1) | instskip(NEXT) | instid1(SALU_CYCLE_1)
	s_and_b32 s2, s4, s2
	s_xor_b32 s3, s2, -1
	s_delay_alu instid0(SALU_CYCLE_1) | instskip(NEXT) | instid1(SALU_CYCLE_1)
	s_and_saveexec_b32 s4, s3
	s_xor_b32 s3, exec_lo, s4
; %bb.75:
	v_lshl_add_u32 v33, v31, 2, v3
	ds_load_b32 v33, v33 offset:4
; %bb.76:
	s_or_saveexec_b32 s3, s3
	v_mov_b32_e32 v34, v30
	s_xor_b32 exec_lo, exec_lo, s3
	s_cbranch_execz .LBB33_78
; %bb.77:
	s_wait_dscnt 0x0
	v_lshl_add_u32 v33, v32, 2, v3
	ds_load_b32 v34, v33 offset:4
	v_mov_b32_e32 v33, v29
.LBB33_78:
	s_or_b32 exec_lo, exec_lo, s3
	v_dual_add_nc_u32 v35, 1, v31 :: v_dual_add_nc_u32 v36, 1, v32
	s_wait_dscnt 0x0
	s_delay_alu instid0(VALU_DEP_2) | instskip(NEXT) | instid1(VALU_DEP_2)
	v_cmp_gt_i32_e64 s4, v34, v33
                                        ; implicit-def: $vgpr37
	v_dual_cndmask_b32 v35, v35, v31, s2 :: v_dual_cndmask_b32 v36, v32, v36, s2
	s_delay_alu instid0(VALU_DEP_1) | instskip(NEXT) | instid1(VALU_DEP_2)
	v_cmp_ge_i32_e64 s3, v35, v21
	v_cmp_lt_i32_e64 s5, v36, v20
	s_or_b32 s3, s3, s4
	s_delay_alu instid0(SALU_CYCLE_1) | instskip(NEXT) | instid1(SALU_CYCLE_1)
	s_and_b32 s3, s5, s3
	s_xor_b32 s4, s3, -1
	s_delay_alu instid0(SALU_CYCLE_1) | instskip(NEXT) | instid1(SALU_CYCLE_1)
	s_and_saveexec_b32 s5, s4
	s_xor_b32 s4, exec_lo, s5
; %bb.79:
	v_lshl_add_u32 v37, v35, 2, v3
	ds_load_b32 v37, v37 offset:4
; %bb.80:
	s_or_saveexec_b32 s4, s4
	v_mov_b32_e32 v38, v34
	s_xor_b32 exec_lo, exec_lo, s4
	s_cbranch_execz .LBB33_82
; %bb.81:
	s_wait_dscnt 0x0
	v_lshl_add_u32 v37, v36, 2, v3
	ds_load_b32 v38, v37 offset:4
	v_mov_b32_e32 v37, v33
.LBB33_82:
	s_or_b32 exec_lo, exec_lo, s4
	v_dual_add_nc_u32 v39, 1, v35 :: v_dual_add_nc_u32 v40, 1, v36
	s_wait_dscnt 0x0
	s_delay_alu instid0(VALU_DEP_2) | instskip(NEXT) | instid1(VALU_DEP_2)
	v_cmp_gt_i32_e64 s5, v38, v37
	v_dual_cndmask_b32 v41, v39, v35, s3 :: v_dual_cndmask_b32 v40, v36, v40, s3
                                        ; implicit-def: $vgpr39
	s_delay_alu instid0(VALU_DEP_1) | instskip(NEXT) | instid1(VALU_DEP_2)
	v_cmp_ge_i32_e64 s4, v41, v21
	v_cmp_lt_i32_e64 s6, v40, v20
	s_or_b32 s4, s4, s5
	s_delay_alu instid0(SALU_CYCLE_1) | instskip(NEXT) | instid1(SALU_CYCLE_1)
	s_and_b32 s4, s6, s4
	s_xor_b32 s5, s4, -1
	s_delay_alu instid0(SALU_CYCLE_1) | instskip(NEXT) | instid1(SALU_CYCLE_1)
	s_and_saveexec_b32 s6, s5
	s_xor_b32 s5, exec_lo, s6
; %bb.83:
	v_lshl_add_u32 v39, v41, 2, v3
	ds_load_b32 v39, v39 offset:4
; %bb.84:
	s_or_saveexec_b32 s5, s5
	v_mov_b32_e32 v42, v38
	s_xor_b32 exec_lo, exec_lo, s5
	s_cbranch_execz .LBB33_86
; %bb.85:
	s_wait_dscnt 0x0
	v_lshl_add_u32 v39, v40, 2, v3
	ds_load_b32 v42, v39 offset:4
	v_mov_b32_e32 v39, v37
.LBB33_86:
	s_or_b32 exec_lo, exec_lo, s5
	v_dual_add_nc_u32 v43, 1, v41 :: v_dual_cndmask_b32 v37, v37, v38, s4
	v_dual_add_nc_u32 v38, 1, v40 :: v_dual_cndmask_b32 v44, v41, v40, s4
	s_delay_alu instid0(VALU_DEP_2) | instskip(SKIP_1) | instid1(VALU_DEP_3)
	v_dual_cndmask_b32 v33, v33, v34, s3 :: v_dual_cndmask_b32 v34, v43, v41, s4
	v_dual_cndmask_b32 v35, v35, v36, s3 :: v_dual_cndmask_b32 v29, v29, v30, s2
	;; [unrolled: 1-line block ×3, first 2 shown]
	s_delay_alu instid0(VALU_DEP_3)
	v_cmp_ge_i32_e64 s2, v34, v21
	s_wait_dscnt 0x0
	v_cmp_gt_i32_e64 s3, v42, v39
	v_cndmask_b32_e64 v21, v25, v26, s1
	v_cmp_lt_i32_e64 s4, v30, v20
	v_cndmask_b32_e64 v20, v27, v28, s1
	v_dual_cndmask_b32 v23, v23, v24, s0 :: v_dual_cndmask_b32 v19, v22, v19, vcc_lo
	s_or_b32 s1, s2, s3
	s_delay_alu instid0(SALU_CYCLE_1) | instskip(NEXT) | instid1(SALU_CYCLE_1)
	s_and_b32 s1, s4, s1
	; wave barrier
	v_cndmask_b32_e64 v22, v34, v30, s1
	ds_store_2addr_b32 v0, v2, v9 offset1:1
	ds_store_2addr_b32 v0, v10, v11 offset0:2 offset1:3
	ds_store_2addr_b32 v0, v12, v13 offset0:4 offset1:5
	ds_store_b32 v0, v14 offset:24
	v_lshl_add_u32 v2, v19, 2, v3
	v_lshl_add_u32 v9, v23, 2, v3
	;; [unrolled: 1-line block ×6, first 2 shown]
	v_and_b32_e32 v23, 15, v8
	v_lshl_add_u32 v14, v22, 2, v3
	; wave barrier
	ds_load_b32 v2, v2
	ds_load_b32 v9, v9
	;; [unrolled: 1-line block ×7, first 2 shown]
	v_dual_cndmask_b32 v24, v39, v42, s1 :: v_dual_bitop2_b32 v20, 16, v8 bitop3:0x40
	v_mad_u32_u24 v25, v23, 7, 0xffffffc8
	v_mul_u32_u24_e32 v19, 7, v23
	v_cndmask_b32_e64 v18, v17, v18, s0
	v_cmp_lt_u32_e64 s0, 7, v23
	v_mul_u32_u24_e32 v22, 7, v20
	v_cndmask_b32_e32 v16, v15, v16, vcc_lo
	v_min_u32_e32 v17, 56, v19
	s_mov_b32 s1, 0
	v_cndmask_b32_e64 v23, 0, v25, s0
	v_lshl_add_u32 v15, v22, 2, v3
	s_mov_b32 s0, exec_lo
	; wave barrier
	ds_store_2addr_b32 v0, v16, v18 offset1:1
	ds_store_2addr_b32 v0, v21, v29 offset0:2 offset1:3
	ds_store_2addr_b32 v0, v33, v37 offset0:4 offset1:5
	ds_store_b32 v0, v24 offset:24
	; wave barrier
	v_cmpx_lt_i32_e64 v23, v17
	s_cbranch_execz .LBB33_90
; %bb.87:
	v_lshl_add_u32 v16, v19, 2, v15
.LBB33_88:                              ; =>This Inner Loop Header: Depth=1
	v_sub_nc_u32_e32 v18, v17, v23
	s_delay_alu instid0(VALU_DEP_1) | instskip(NEXT) | instid1(VALU_DEP_1)
	v_lshrrev_b32_e32 v18, 1, v18
	v_add_nc_u32_e32 v18, v18, v23
	s_delay_alu instid0(VALU_DEP_1) | instskip(SKIP_1) | instid1(VALU_DEP_2)
	v_not_b32_e32 v20, v18
	v_lshl_add_u32 v21, v18, 2, v15
	v_lshl_add_u32 v20, v20, 2, v16
	ds_load_b32 v21, v21
	ds_load_b32 v20, v20 offset:224
	s_wait_dscnt 0x0
	v_cmp_gt_i32_e32 vcc_lo, v20, v21
	v_dual_cndmask_b32 v17, v17, v18 :: v_dual_add_nc_u32 v24, 1, v18
	s_delay_alu instid0(VALU_DEP_1) | instskip(NEXT) | instid1(VALU_DEP_1)
	v_cndmask_b32_e32 v23, v24, v23, vcc_lo
	v_cmp_ge_i32_e32 vcc_lo, v23, v17
	s_or_b32 s1, vcc_lo, s1
	s_delay_alu instid0(SALU_CYCLE_1)
	s_and_not1_b32 exec_lo, exec_lo, s1
	s_cbranch_execnz .LBB33_88
; %bb.89:
	s_or_b32 exec_lo, exec_lo, s1
.LBB33_90:
	s_delay_alu instid0(SALU_CYCLE_1)
	s_or_b32 exec_lo, exec_lo, s0
	v_add_nc_u32_e32 v16, v22, v19
	v_lshl_add_u32 v25, v23, 2, v15
	v_add_nc_u32_e32 v15, 56, v22
	v_add_nc_u32_e32 v20, 0x70, v22
	v_cmp_lt_i32_e32 vcc_lo, 55, v23
	s_delay_alu instid0(VALU_DEP_3) | instskip(NEXT) | instid1(VALU_DEP_1)
	v_add_nc_u32_e32 v18, v15, v19
	v_dual_sub_nc_u32 v16, v16, v23 :: v_dual_sub_nc_u32 v21, v18, v23
	s_delay_alu instid0(VALU_DEP_1)
	v_lshl_add_u32 v24, v16, 2, v3
	ds_load_b32 v16, v25
	ds_load_b32 v17, v24 offset:224
	v_cmp_gt_i32_e64 s1, v20, v21
                                        ; implicit-def: $vgpr18
	s_wait_dscnt 0x0
	v_cmp_gt_i32_e64 s0, v17, v16
	s_or_b32 s0, vcc_lo, s0
	s_delay_alu instid0(SALU_CYCLE_1) | instskip(NEXT) | instid1(SALU_CYCLE_1)
	s_and_b32 vcc_lo, s1, s0
	s_xor_b32 s0, vcc_lo, -1
	s_delay_alu instid0(SALU_CYCLE_1) | instskip(NEXT) | instid1(SALU_CYCLE_1)
	s_and_saveexec_b32 s1, s0
	s_xor_b32 s0, exec_lo, s1
; %bb.91:
	ds_load_b32 v18, v25 offset:4
                                        ; implicit-def: $vgpr24
; %bb.92:
	s_or_saveexec_b32 s0, s0
	v_mov_b32_e32 v19, v17
	s_xor_b32 exec_lo, exec_lo, s0
	s_cbranch_execz .LBB33_94
; %bb.93:
	ds_load_b32 v19, v24 offset:228
	s_wait_dscnt 0x1
	v_mov_b32_e32 v18, v16
.LBB33_94:
	s_or_b32 exec_lo, exec_lo, s0
	v_dual_add_nc_u32 v24, v23, v22 :: v_dual_add_nc_u32 v23, 1, v21
	s_wait_dscnt 0x0
	s_delay_alu instid0(VALU_DEP_2) | instskip(NEXT) | instid1(VALU_DEP_2)
	v_cmp_gt_i32_e64 s1, v19, v18
	v_dual_add_nc_u32 v22, 1, v24 :: v_dual_cndmask_b32 v26, v21, v23, vcc_lo
	s_delay_alu instid0(VALU_DEP_1) | instskip(NEXT) | instid1(VALU_DEP_2)
	v_cndmask_b32_e32 v25, v22, v24, vcc_lo
	v_cmp_lt_i32_e64 s2, v26, v20
                                        ; implicit-def: $vgpr22
	s_delay_alu instid0(VALU_DEP_2) | instskip(SKIP_1) | instid1(SALU_CYCLE_1)
	v_cmp_ge_i32_e64 s0, v25, v15
	s_or_b32 s0, s0, s1
	s_and_b32 s0, s2, s0
	s_delay_alu instid0(SALU_CYCLE_1) | instskip(NEXT) | instid1(SALU_CYCLE_1)
	s_xor_b32 s1, s0, -1
	s_and_saveexec_b32 s2, s1
	s_delay_alu instid0(SALU_CYCLE_1)
	s_xor_b32 s1, exec_lo, s2
; %bb.95:
	v_lshl_add_u32 v22, v25, 2, v3
	ds_load_b32 v22, v22 offset:4
; %bb.96:
	s_or_saveexec_b32 s1, s1
	v_mov_b32_e32 v23, v19
	s_xor_b32 exec_lo, exec_lo, s1
	s_cbranch_execz .LBB33_98
; %bb.97:
	s_wait_dscnt 0x0
	v_lshl_add_u32 v22, v26, 2, v3
	ds_load_b32 v23, v22 offset:4
	v_mov_b32_e32 v22, v18
.LBB33_98:
	s_or_b32 exec_lo, exec_lo, s1
	v_dual_add_nc_u32 v27, 1, v25 :: v_dual_add_nc_u32 v28, 1, v26
	s_wait_dscnt 0x0
	s_delay_alu instid0(VALU_DEP_2) | instskip(NEXT) | instid1(VALU_DEP_2)
	v_cmp_gt_i32_e64 s2, v23, v22
	v_dual_cndmask_b32 v30, v27, v25, s0 :: v_dual_cndmask_b32 v31, v26, v28, s0
                                        ; implicit-def: $vgpr27
	s_delay_alu instid0(VALU_DEP_1) | instskip(NEXT) | instid1(VALU_DEP_2)
	v_cmp_ge_i32_e64 s1, v30, v15
	v_cmp_lt_i32_e64 s3, v31, v20
	s_or_b32 s1, s1, s2
	s_delay_alu instid0(SALU_CYCLE_1) | instskip(NEXT) | instid1(SALU_CYCLE_1)
	s_and_b32 s1, s3, s1
	s_xor_b32 s2, s1, -1
	s_delay_alu instid0(SALU_CYCLE_1) | instskip(NEXT) | instid1(SALU_CYCLE_1)
	s_and_saveexec_b32 s3, s2
	s_xor_b32 s2, exec_lo, s3
; %bb.99:
	v_lshl_add_u32 v27, v30, 2, v3
	ds_load_b32 v27, v27 offset:4
; %bb.100:
	s_or_saveexec_b32 s2, s2
	v_mov_b32_e32 v28, v23
	s_xor_b32 exec_lo, exec_lo, s2
	s_cbranch_execz .LBB33_102
; %bb.101:
	s_wait_dscnt 0x0
	v_lshl_add_u32 v27, v31, 2, v3
	ds_load_b32 v28, v27 offset:4
	v_mov_b32_e32 v27, v22
.LBB33_102:
	s_or_b32 exec_lo, exec_lo, s2
	v_dual_add_nc_u32 v29, 1, v30 :: v_dual_add_nc_u32 v32, 1, v31
	s_wait_dscnt 0x0
	s_delay_alu instid0(VALU_DEP_2) | instskip(NEXT) | instid1(VALU_DEP_2)
	v_cmp_gt_i32_e64 s3, v28, v27
	v_dual_cndmask_b32 v33, v29, v30, s1 :: v_dual_cndmask_b32 v34, v31, v32, s1
                                        ; implicit-def: $vgpr29
	s_delay_alu instid0(VALU_DEP_1) | instskip(NEXT) | instid1(VALU_DEP_2)
	v_cmp_ge_i32_e64 s2, v33, v15
	v_cmp_lt_i32_e64 s4, v34, v20
	s_or_b32 s2, s2, s3
	s_delay_alu instid0(SALU_CYCLE_1) | instskip(NEXT) | instid1(SALU_CYCLE_1)
	s_and_b32 s2, s4, s2
	s_xor_b32 s3, s2, -1
	s_delay_alu instid0(SALU_CYCLE_1) | instskip(NEXT) | instid1(SALU_CYCLE_1)
	s_and_saveexec_b32 s4, s3
	s_xor_b32 s3, exec_lo, s4
; %bb.103:
	v_lshl_add_u32 v29, v33, 2, v3
	ds_load_b32 v29, v29 offset:4
; %bb.104:
	s_or_saveexec_b32 s3, s3
	v_mov_b32_e32 v32, v28
	s_xor_b32 exec_lo, exec_lo, s3
	s_cbranch_execz .LBB33_106
; %bb.105:
	s_wait_dscnt 0x0
	v_lshl_add_u32 v29, v34, 2, v3
	ds_load_b32 v32, v29 offset:4
	v_mov_b32_e32 v29, v27
.LBB33_106:
	s_or_b32 exec_lo, exec_lo, s3
	v_dual_add_nc_u32 v35, 1, v33 :: v_dual_add_nc_u32 v36, 1, v34
	s_wait_dscnt 0x0
	s_delay_alu instid0(VALU_DEP_2) | instskip(NEXT) | instid1(VALU_DEP_2)
	v_cmp_gt_i32_e64 s4, v32, v29
                                        ; implicit-def: $vgpr37
	v_dual_cndmask_b32 v35, v35, v33, s2 :: v_dual_cndmask_b32 v36, v34, v36, s2
	s_delay_alu instid0(VALU_DEP_1) | instskip(NEXT) | instid1(VALU_DEP_2)
	v_cmp_ge_i32_e64 s3, v35, v15
	v_cmp_lt_i32_e64 s5, v36, v20
	s_or_b32 s3, s3, s4
	s_delay_alu instid0(SALU_CYCLE_1) | instskip(NEXT) | instid1(SALU_CYCLE_1)
	s_and_b32 s3, s5, s3
	s_xor_b32 s4, s3, -1
	s_delay_alu instid0(SALU_CYCLE_1) | instskip(NEXT) | instid1(SALU_CYCLE_1)
	s_and_saveexec_b32 s5, s4
	s_xor_b32 s4, exec_lo, s5
; %bb.107:
	v_lshl_add_u32 v37, v35, 2, v3
	ds_load_b32 v37, v37 offset:4
; %bb.108:
	s_or_saveexec_b32 s4, s4
	v_mov_b32_e32 v39, v32
	s_xor_b32 exec_lo, exec_lo, s4
	s_cbranch_execz .LBB33_110
; %bb.109:
	s_wait_dscnt 0x0
	v_lshl_add_u32 v37, v36, 2, v3
	ds_load_b32 v39, v37 offset:4
	v_mov_b32_e32 v37, v29
.LBB33_110:
	s_or_b32 exec_lo, exec_lo, s4
	v_dual_add_nc_u32 v38, 1, v35 :: v_dual_add_nc_u32 v40, 1, v36
	s_wait_dscnt 0x0
	s_delay_alu instid0(VALU_DEP_2) | instskip(NEXT) | instid1(VALU_DEP_2)
	v_cmp_gt_i32_e64 s5, v39, v37
	v_dual_cndmask_b32 v41, v38, v35, s3 :: v_dual_cndmask_b32 v40, v36, v40, s3
                                        ; implicit-def: $vgpr38
	s_delay_alu instid0(VALU_DEP_1) | instskip(NEXT) | instid1(VALU_DEP_2)
	v_cmp_ge_i32_e64 s4, v41, v15
	v_cmp_lt_i32_e64 s6, v40, v20
	s_or_b32 s4, s4, s5
	s_delay_alu instid0(SALU_CYCLE_1) | instskip(NEXT) | instid1(SALU_CYCLE_1)
	s_and_b32 s4, s6, s4
	s_xor_b32 s5, s4, -1
	s_delay_alu instid0(SALU_CYCLE_1) | instskip(NEXT) | instid1(SALU_CYCLE_1)
	s_and_saveexec_b32 s6, s5
	s_xor_b32 s5, exec_lo, s6
; %bb.111:
	v_lshl_add_u32 v38, v41, 2, v3
	ds_load_b32 v38, v38 offset:4
; %bb.112:
	s_or_saveexec_b32 s5, s5
	v_mov_b32_e32 v42, v39
	s_xor_b32 exec_lo, exec_lo, s5
	s_cbranch_execz .LBB33_114
; %bb.113:
	s_wait_dscnt 0x0
	v_lshl_add_u32 v38, v40, 2, v3
	ds_load_b32 v42, v38 offset:4
	v_mov_b32_e32 v38, v37
.LBB33_114:
	s_or_b32 exec_lo, exec_lo, s5
	v_dual_add_nc_u32 v43, 1, v41 :: v_dual_cndmask_b32 v37, v37, v39, s4
	v_dual_add_nc_u32 v39, 1, v40 :: v_dual_cndmask_b32 v44, v41, v40, s4
	v_dual_cndmask_b32 v35, v35, v36, s3 :: v_dual_cndmask_b32 v33, v33, v34, s2
	s_delay_alu instid0(VALU_DEP_2) | instskip(SKIP_3) | instid1(VALU_DEP_3)
	v_dual_cndmask_b32 v36, v43, v41, s4 :: v_dual_cndmask_b32 v34, v40, v39, s4
	s_wait_dscnt 0x0
	v_cmp_gt_i32_e64 s4, v42, v38
	v_cndmask_b32_e64 v30, v30, v31, s1
	v_cmp_ge_i32_e64 s5, v36, v15
	v_cmp_lt_i32_e64 s6, v34, v20
	v_cndmask_b32_e64 v15, v25, v26, s0
	; wave barrier
	ds_store_2addr_b32 v0, v2, v9 offset1:1
	ds_store_2addr_b32 v0, v10, v11 offset0:2 offset1:3
	ds_store_2addr_b32 v0, v12, v13 offset0:4 offset1:5
	ds_store_b32 v0, v14 offset:24
	s_or_b32 s4, s5, s4
	v_lshl_add_u32 v11, v30, 2, v3
	s_and_b32 s4, s6, s4
	s_delay_alu instid0(SALU_CYCLE_1) | instskip(SKIP_3) | instid1(VALU_DEP_4)
	v_dual_cndmask_b32 v20, v24, v21, vcc_lo :: v_dual_cndmask_b32 v21, v38, v42, s4
	v_cndmask_b32_e64 v24, v36, v34, s4
	v_lshl_add_u32 v10, v15, 2, v3
	v_lshl_add_u32 v12, v33, 2, v3
	;; [unrolled: 1-line block ×5, first 2 shown]
	v_cndmask_b32_e64 v20, v29, v32, s3
	v_lshl_add_u32 v15, v24, 2, v3
	; wave barrier
	ds_load_b32 v9, v2
	ds_load_b32 v10, v10
	;; [unrolled: 1-line block ×7, first 2 shown]
	v_add_nc_u32_e32 v2, 0xffffff90, v1
	v_dual_cndmask_b32 v24, v27, v28, s2 :: v_dual_cndmask_b32 v18, v18, v19, s0
	v_cmp_lt_u32_e64 s0, 15, v8
	v_min_u32_e32 v8, 0x70, v1
	v_dual_cndmask_b32 v16, v16, v17, vcc_lo :: v_dual_cndmask_b32 v17, v22, v23, s1
	s_mov_b32 s1, 0
	v_cndmask_b32_e64 v2, 0, v2, s0
	s_mov_b32 s0, exec_lo
	; wave barrier
	ds_store_2addr_b32 v0, v16, v18 offset1:1
	ds_store_2addr_b32 v0, v17, v24 offset0:2 offset1:3
	ds_store_2addr_b32 v0, v20, v37 offset0:4 offset1:5
	ds_store_b32 v0, v21 offset:24
	; wave barrier
	v_cmpx_lt_u32_e64 v2, v8
	s_cbranch_execz .LBB33_117
.LBB33_115:                             ; =>This Inner Loop Header: Depth=1
	v_sub_nc_u32_e32 v16, v8, v2
	s_delay_alu instid0(VALU_DEP_1) | instskip(NEXT) | instid1(VALU_DEP_1)
	v_lshrrev_b32_e32 v16, 1, v16
	v_add_nc_u32_e32 v16, v16, v2
	s_delay_alu instid0(VALU_DEP_1) | instskip(SKIP_1) | instid1(VALU_DEP_2)
	v_not_b32_e32 v17, v16
	v_lshl_add_u32 v18, v16, 2, v3
	v_lshl_add_u32 v17, v17, 2, v0
	ds_load_b32 v18, v18
	ds_load_b32 v17, v17 offset:448
	s_wait_dscnt 0x0
	v_cmp_gt_i32_e32 vcc_lo, v17, v18
	v_dual_cndmask_b32 v8, v8, v16 :: v_dual_add_nc_u32 v19, 1, v16
	s_delay_alu instid0(VALU_DEP_1) | instskip(NEXT) | instid1(VALU_DEP_1)
	v_cndmask_b32_e32 v2, v19, v2, vcc_lo
	v_cmp_ge_i32_e32 vcc_lo, v2, v8
	s_or_b32 s1, vcc_lo, s1
	s_delay_alu instid0(SALU_CYCLE_1)
	s_and_not1_b32 exec_lo, exec_lo, s1
	s_cbranch_execnz .LBB33_115
; %bb.116:
	s_or_b32 exec_lo, exec_lo, s1
.LBB33_117:
	s_delay_alu instid0(SALU_CYCLE_1) | instskip(SKIP_3) | instid1(VALU_DEP_3)
	s_or_b32 exec_lo, exec_lo, s0
	v_sub_nc_u32_e32 v17, v1, v2
	v_lshl_add_u32 v18, v2, 2, v3
	v_cmp_lt_i32_e32 vcc_lo, 0x6f, v2
	v_lshl_add_u32 v1, v17, 2, v3
	v_add_nc_u32_e32 v19, 0x70, v17
                                        ; implicit-def: $vgpr17
	ds_load_b32 v8, v18
	ds_load_b32 v16, v1 offset:448
	v_cmp_gt_i32_e64 s1, 0xe0, v19
	s_wait_dscnt 0x0
	v_cmp_gt_i32_e64 s0, v16, v8
	s_or_b32 s0, vcc_lo, s0
	s_delay_alu instid0(SALU_CYCLE_1) | instskip(NEXT) | instid1(SALU_CYCLE_1)
	s_and_b32 vcc_lo, s1, s0
	s_xor_b32 s0, vcc_lo, -1
	s_delay_alu instid0(SALU_CYCLE_1) | instskip(NEXT) | instid1(SALU_CYCLE_1)
	s_and_saveexec_b32 s1, s0
	s_xor_b32 s0, exec_lo, s1
; %bb.118:
	ds_load_b32 v17, v18 offset:4
                                        ; implicit-def: $vgpr1
; %bb.119:
	s_or_saveexec_b32 s0, s0
	v_mov_b32_e32 v18, v16
	s_xor_b32 exec_lo, exec_lo, s0
	s_cbranch_execz .LBB33_121
; %bb.120:
	ds_load_b32 v18, v1 offset:452
	s_wait_dscnt 0x1
	v_mov_b32_e32 v17, v8
.LBB33_121:
	s_or_b32 exec_lo, exec_lo, s0
	v_dual_add_nc_u32 v1, 1, v2 :: v_dual_add_nc_u32 v20, 1, v19
	s_wait_dscnt 0x0
	s_delay_alu instid0(VALU_DEP_2) | instskip(NEXT) | instid1(VALU_DEP_2)
	v_cmp_gt_i32_e64 s1, v18, v17
	v_dual_cndmask_b32 v22, v1, v2 :: v_dual_cndmask_b32 v23, v19, v20
                                        ; implicit-def: $vgpr20
	s_delay_alu instid0(VALU_DEP_1) | instskip(NEXT) | instid1(VALU_DEP_2)
	v_cmp_lt_i32_e64 s0, 0x6f, v22
	v_cmp_gt_i32_e64 s2, 0xe0, v23
	s_or_b32 s0, s0, s1
	s_delay_alu instid0(SALU_CYCLE_1) | instskip(NEXT) | instid1(SALU_CYCLE_1)
	s_and_b32 s0, s2, s0
	s_xor_b32 s1, s0, -1
	s_delay_alu instid0(SALU_CYCLE_1) | instskip(NEXT) | instid1(SALU_CYCLE_1)
	s_and_saveexec_b32 s2, s1
	s_xor_b32 s1, exec_lo, s2
; %bb.122:
	v_lshl_add_u32 v1, v22, 2, v3
	ds_load_b32 v20, v1 offset:4
; %bb.123:
	s_or_saveexec_b32 s1, s1
	v_mov_b32_e32 v21, v18
	s_xor_b32 exec_lo, exec_lo, s1
	s_cbranch_execz .LBB33_125
; %bb.124:
	v_lshl_add_u32 v1, v23, 2, v3
	s_wait_dscnt 0x0
	v_mov_b32_e32 v20, v17
	ds_load_b32 v21, v1 offset:4
.LBB33_125:
	s_or_b32 exec_lo, exec_lo, s1
	v_dual_add_nc_u32 v1, 1, v22 :: v_dual_add_nc_u32 v24, 1, v23
	s_wait_dscnt 0x0
	v_cmp_gt_i32_e64 s2, v21, v20
	s_delay_alu instid0(VALU_DEP_2) | instskip(NEXT) | instid1(VALU_DEP_1)
	v_dual_cndmask_b32 v26, v1, v22, s0 :: v_dual_cndmask_b32 v27, v23, v24, s0
                                        ; implicit-def: $vgpr24
	v_cmp_lt_i32_e64 s1, 0x6f, v26
	s_delay_alu instid0(VALU_DEP_2) | instskip(SKIP_1) | instid1(SALU_CYCLE_1)
	v_cmp_gt_i32_e64 s3, 0xe0, v27
	s_or_b32 s1, s1, s2
	s_and_b32 s1, s3, s1
	s_delay_alu instid0(SALU_CYCLE_1) | instskip(NEXT) | instid1(SALU_CYCLE_1)
	s_xor_b32 s2, s1, -1
	s_and_saveexec_b32 s3, s2
	s_delay_alu instid0(SALU_CYCLE_1)
	s_xor_b32 s2, exec_lo, s3
; %bb.126:
	v_lshl_add_u32 v1, v26, 2, v3
	ds_load_b32 v24, v1 offset:4
; %bb.127:
	s_or_saveexec_b32 s2, s2
	v_mov_b32_e32 v25, v21
	s_xor_b32 exec_lo, exec_lo, s2
	s_cbranch_execz .LBB33_129
; %bb.128:
	v_lshl_add_u32 v1, v27, 2, v3
	s_wait_dscnt 0x0
	v_mov_b32_e32 v24, v20
	ds_load_b32 v25, v1 offset:4
.LBB33_129:
	s_or_b32 exec_lo, exec_lo, s2
	v_dual_add_nc_u32 v1, 1, v26 :: v_dual_add_nc_u32 v28, 1, v27
	s_wait_dscnt 0x0
	v_cmp_gt_i32_e64 s3, v25, v24
	s_delay_alu instid0(VALU_DEP_2) | instskip(NEXT) | instid1(VALU_DEP_1)
	v_dual_cndmask_b32 v30, v1, v26, s1 :: v_dual_cndmask_b32 v31, v27, v28, s1
                                        ; implicit-def: $vgpr28
	v_cmp_lt_i32_e64 s2, 0x6f, v30
	s_delay_alu instid0(VALU_DEP_2) | instskip(SKIP_1) | instid1(SALU_CYCLE_1)
	v_cmp_gt_i32_e64 s4, 0xe0, v31
	s_or_b32 s2, s2, s3
	s_and_b32 s2, s4, s2
	s_delay_alu instid0(SALU_CYCLE_1) | instskip(NEXT) | instid1(SALU_CYCLE_1)
	s_xor_b32 s3, s2, -1
	s_and_saveexec_b32 s4, s3
	s_delay_alu instid0(SALU_CYCLE_1)
	s_xor_b32 s3, exec_lo, s4
; %bb.130:
	v_lshl_add_u32 v1, v30, 2, v3
	ds_load_b32 v28, v1 offset:4
; %bb.131:
	s_or_saveexec_b32 s3, s3
	v_mov_b32_e32 v29, v25
	s_xor_b32 exec_lo, exec_lo, s3
	s_cbranch_execz .LBB33_133
; %bb.132:
	v_lshl_add_u32 v1, v31, 2, v3
	s_wait_dscnt 0x0
	v_mov_b32_e32 v28, v24
	ds_load_b32 v29, v1 offset:4
.LBB33_133:
	s_or_b32 exec_lo, exec_lo, s3
	v_dual_add_nc_u32 v1, 1, v30 :: v_dual_add_nc_u32 v33, 1, v31
	s_wait_dscnt 0x0
	v_cmp_gt_i32_e64 s4, v29, v28
                                        ; implicit-def: $vgpr36
	s_delay_alu instid0(VALU_DEP_2) | instskip(NEXT) | instid1(VALU_DEP_1)
	v_dual_cndmask_b32 v32, v1, v30, s2 :: v_dual_cndmask_b32 v33, v31, v33, s2
	v_cmp_lt_i32_e64 s3, 0x6f, v32
	s_delay_alu instid0(VALU_DEP_2) | instskip(SKIP_1) | instid1(SALU_CYCLE_1)
	v_cmp_gt_i32_e64 s5, 0xe0, v33
	s_or_b32 s3, s3, s4
	s_and_b32 s3, s5, s3
	s_delay_alu instid0(SALU_CYCLE_1) | instskip(NEXT) | instid1(SALU_CYCLE_1)
	s_xor_b32 s4, s3, -1
	s_and_saveexec_b32 s5, s4
	s_delay_alu instid0(SALU_CYCLE_1)
	s_xor_b32 s4, exec_lo, s5
; %bb.134:
	v_lshl_add_u32 v1, v32, 2, v3
	ds_load_b32 v36, v1 offset:4
; %bb.135:
	s_or_saveexec_b32 s4, s4
	v_mov_b32_e32 v34, v29
	s_xor_b32 exec_lo, exec_lo, s4
	s_cbranch_execz .LBB33_137
; %bb.136:
	v_lshl_add_u32 v1, v33, 2, v3
	s_wait_dscnt 0x0
	v_mov_b32_e32 v36, v28
	ds_load_b32 v34, v1 offset:4
.LBB33_137:
	s_or_b32 exec_lo, exec_lo, s4
	v_dual_add_nc_u32 v1, 1, v32 :: v_dual_add_nc_u32 v35, 1, v33
	s_wait_dscnt 0x0
	v_cmp_le_i32_e64 s5, v34, v36
                                        ; implicit-def: $vgpr39
                                        ; implicit-def: $vgpr38
	s_delay_alu instid0(VALU_DEP_2) | instskip(NEXT) | instid1(VALU_DEP_3)
	v_cndmask_b32_e64 v40, v1, v32, s3
	v_cndmask_b32_e64 v35, v33, v35, s3
	s_delay_alu instid0(VALU_DEP_2) | instskip(NEXT) | instid1(VALU_DEP_2)
	v_cmp_gt_i32_e64 s4, 0x70, v40
	v_cmp_lt_i32_e64 s6, 0xdf, v35
	s_and_b32 s4, s4, s5
	s_delay_alu instid0(SALU_CYCLE_1) | instskip(NEXT) | instid1(SALU_CYCLE_1)
	s_or_b32 s4, s6, s4
	s_and_saveexec_b32 s5, s4
	s_delay_alu instid0(SALU_CYCLE_1)
	s_xor_b32 s4, exec_lo, s5
; %bb.138:
	v_lshl_add_u32 v1, v40, 2, v3
	v_add_nc_u32_e32 v38, 1, v40
	ds_load_b32 v39, v1 offset:4
; %bb.139:
	s_or_saveexec_b32 s4, s4
	v_dual_mov_b32 v1, v36 :: v_dual_mov_b32 v37, v40
	s_xor_b32 exec_lo, exec_lo, s4
	s_cbranch_execz .LBB33_141
; %bb.140:
	v_lshl_add_u32 v1, v35, 2, v3
	s_wait_dscnt 0x0
	v_dual_add_nc_u32 v39, 1, v35 :: v_dual_mov_b32 v37, v35
	v_mov_b32_e32 v38, v40
	ds_load_b32 v41, v1 offset:4
	v_dual_mov_b32 v1, v34 :: v_dual_mov_b32 v35, v39
	s_wait_dscnt 0x0
	v_dual_mov_b32 v39, v36 :: v_dual_mov_b32 v34, v41
.LBB33_141:
	s_or_b32 exec_lo, exec_lo, s4
	v_cmp_lt_i32_e64 s4, 0x6f, v38
	s_wait_dscnt 0x0
	s_delay_alu instid0(VALU_DEP_2)
	v_cmp_gt_i32_e64 s5, v34, v39
	v_cmp_gt_i32_e64 s6, 0xe0, v35
	v_cndmask_b32_e64 v22, v22, v23, s0
	v_dual_cndmask_b32 v19, v2, v19, vcc_lo :: v_dual_cndmask_b32 v32, v32, v33, s3
	v_cndmask_b32_e64 v30, v30, v31, s2
	s_or_b32 s4, s4, s5
	s_delay_alu instid0(SALU_CYCLE_1) | instskip(NEXT) | instid1(SALU_CYCLE_1)
	s_and_b32 s4, s6, s4
	v_dual_cndmask_b32 v26, v26, v27, s1 :: v_dual_cndmask_b32 v2, v39, v34, s4
	v_cndmask_b32_e64 v23, v38, v35, s4
	; wave barrier
	ds_store_2addr_b32 v0, v9, v10 offset1:1
	ds_store_2addr_b32 v0, v11, v12 offset0:2 offset1:3
	ds_store_2addr_b32 v0, v13, v14 offset0:4 offset1:5
	ds_store_b32 v0, v15 offset:24
	v_lshl_add_u32 v9, v22, 2, v3
	v_cndmask_b32_e64 v22, v20, v21, s1
	v_lshl_add_u32 v0, v19, 2, v3
	v_lshl_add_u32 v12, v26, 2, v3
	;; [unrolled: 1-line block ×4, first 2 shown]
	; wave barrier
	v_lshl_add_u32 v15, v37, 2, v3
	v_cndmask_b32_e64 v21, v17, v18, s0
	v_lshl_add_u32 v3, v23, 2, v3
	ds_load_b32 v10, v0
	ds_load_b32 v11, v9
	;; [unrolled: 1-line block ×7, first 2 shown]
	v_cndmask_b32_e64 v23, v24, v25, s2
	v_cndmask_b32_e32 v20, v8, v16, vcc_lo
	v_cndmask_b32_e64 v0, v28, v29, s3
	s_clause 0x1
	global_store_b128 v[6:7], v[20:23], off
	global_store_b96 v[6:7], v[0:2], off offset:16
	s_wait_dscnt 0x3
	global_store_b128 v[4:5], v[10:13], off
	s_wait_dscnt 0x0
	global_store_b96 v[4:5], v[30:32], off offset:16
	s_endpgm
	.section	.rodata,"a",@progbits
	.p2align	6, 0x0
	.amdhsa_kernel _Z21sort_keys_values_fullILj256ELj32ELj7ELb0EiN10test_utils16custom_test_typeIsEENS0_7greaterEEvPT3_PT4_T5_
		.amdhsa_group_segment_fixed_size 7200
		.amdhsa_private_segment_fixed_size 0
		.amdhsa_kernarg_size 20
		.amdhsa_user_sgpr_count 2
		.amdhsa_user_sgpr_dispatch_ptr 0
		.amdhsa_user_sgpr_queue_ptr 0
		.amdhsa_user_sgpr_kernarg_segment_ptr 1
		.amdhsa_user_sgpr_dispatch_id 0
		.amdhsa_user_sgpr_kernarg_preload_length 0
		.amdhsa_user_sgpr_kernarg_preload_offset 0
		.amdhsa_user_sgpr_private_segment_size 0
		.amdhsa_wavefront_size32 1
		.amdhsa_uses_dynamic_stack 0
		.amdhsa_enable_private_segment 0
		.amdhsa_system_sgpr_workgroup_id_x 1
		.amdhsa_system_sgpr_workgroup_id_y 0
		.amdhsa_system_sgpr_workgroup_id_z 0
		.amdhsa_system_sgpr_workgroup_info 0
		.amdhsa_system_vgpr_workitem_id 0
		.amdhsa_next_free_vgpr 50
		.amdhsa_next_free_sgpr 16
		.amdhsa_named_barrier_count 0
		.amdhsa_reserve_vcc 1
		.amdhsa_float_round_mode_32 0
		.amdhsa_float_round_mode_16_64 0
		.amdhsa_float_denorm_mode_32 3
		.amdhsa_float_denorm_mode_16_64 3
		.amdhsa_fp16_overflow 0
		.amdhsa_memory_ordered 1
		.amdhsa_forward_progress 1
		.amdhsa_inst_pref_size 66
		.amdhsa_round_robin_scheduling 0
		.amdhsa_exception_fp_ieee_invalid_op 0
		.amdhsa_exception_fp_denorm_src 0
		.amdhsa_exception_fp_ieee_div_zero 0
		.amdhsa_exception_fp_ieee_overflow 0
		.amdhsa_exception_fp_ieee_underflow 0
		.amdhsa_exception_fp_ieee_inexact 0
		.amdhsa_exception_int_div_zero 0
	.end_amdhsa_kernel
	.section	.text._Z21sort_keys_values_fullILj256ELj32ELj7ELb0EiN10test_utils16custom_test_typeIsEENS0_7greaterEEvPT3_PT4_T5_,"axG",@progbits,_Z21sort_keys_values_fullILj256ELj32ELj7ELb0EiN10test_utils16custom_test_typeIsEENS0_7greaterEEvPT3_PT4_T5_,comdat
.Lfunc_end33:
	.size	_Z21sort_keys_values_fullILj256ELj32ELj7ELb0EiN10test_utils16custom_test_typeIsEENS0_7greaterEEvPT3_PT4_T5_, .Lfunc_end33-_Z21sort_keys_values_fullILj256ELj32ELj7ELb0EiN10test_utils16custom_test_typeIsEENS0_7greaterEEvPT3_PT4_T5_
                                        ; -- End function
	.set _Z21sort_keys_values_fullILj256ELj32ELj7ELb0EiN10test_utils16custom_test_typeIsEENS0_7greaterEEvPT3_PT4_T5_.num_vgpr, 50
	.set _Z21sort_keys_values_fullILj256ELj32ELj7ELb0EiN10test_utils16custom_test_typeIsEENS0_7greaterEEvPT3_PT4_T5_.num_agpr, 0
	.set _Z21sort_keys_values_fullILj256ELj32ELj7ELb0EiN10test_utils16custom_test_typeIsEENS0_7greaterEEvPT3_PT4_T5_.numbered_sgpr, 16
	.set _Z21sort_keys_values_fullILj256ELj32ELj7ELb0EiN10test_utils16custom_test_typeIsEENS0_7greaterEEvPT3_PT4_T5_.num_named_barrier, 0
	.set _Z21sort_keys_values_fullILj256ELj32ELj7ELb0EiN10test_utils16custom_test_typeIsEENS0_7greaterEEvPT3_PT4_T5_.private_seg_size, 0
	.set _Z21sort_keys_values_fullILj256ELj32ELj7ELb0EiN10test_utils16custom_test_typeIsEENS0_7greaterEEvPT3_PT4_T5_.uses_vcc, 1
	.set _Z21sort_keys_values_fullILj256ELj32ELj7ELb0EiN10test_utils16custom_test_typeIsEENS0_7greaterEEvPT3_PT4_T5_.uses_flat_scratch, 0
	.set _Z21sort_keys_values_fullILj256ELj32ELj7ELb0EiN10test_utils16custom_test_typeIsEENS0_7greaterEEvPT3_PT4_T5_.has_dyn_sized_stack, 0
	.set _Z21sort_keys_values_fullILj256ELj32ELj7ELb0EiN10test_utils16custom_test_typeIsEENS0_7greaterEEvPT3_PT4_T5_.has_recursion, 0
	.set _Z21sort_keys_values_fullILj256ELj32ELj7ELb0EiN10test_utils16custom_test_typeIsEENS0_7greaterEEvPT3_PT4_T5_.has_indirect_call, 0
	.section	.AMDGPU.csdata,"",@progbits
; Kernel info:
; codeLenInByte = 8332
; TotalNumSgprs: 18
; NumVgprs: 50
; ScratchSize: 0
; MemoryBound: 0
; FloatMode: 240
; IeeeMode: 1
; LDSByteSize: 7200 bytes/workgroup (compile time only)
; SGPRBlocks: 0
; VGPRBlocks: 3
; NumSGPRsForWavesPerEU: 18
; NumVGPRsForWavesPerEU: 50
; NamedBarCnt: 0
; Occupancy: 16
; WaveLimiterHint : 0
; COMPUTE_PGM_RSRC2:SCRATCH_EN: 0
; COMPUTE_PGM_RSRC2:USER_SGPR: 2
; COMPUTE_PGM_RSRC2:TRAP_HANDLER: 0
; COMPUTE_PGM_RSRC2:TGID_X_EN: 1
; COMPUTE_PGM_RSRC2:TGID_Y_EN: 0
; COMPUTE_PGM_RSRC2:TGID_Z_EN: 0
; COMPUTE_PGM_RSRC2:TIDIG_COMP_CNT: 0
	.section	.text._Z21sort_keys_values_fullILj256ELj8ELj4ELb1ExsN10test_utils4lessEEvPT3_PT4_T5_,"axG",@progbits,_Z21sort_keys_values_fullILj256ELj8ELj4ELb1ExsN10test_utils4lessEEvPT3_PT4_T5_,comdat
	.protected	_Z21sort_keys_values_fullILj256ELj8ELj4ELb1ExsN10test_utils4lessEEvPT3_PT4_T5_ ; -- Begin function _Z21sort_keys_values_fullILj256ELj8ELj4ELb1ExsN10test_utils4lessEEvPT3_PT4_T5_
	.globl	_Z21sort_keys_values_fullILj256ELj8ELj4ELb1ExsN10test_utils4lessEEvPT3_PT4_T5_
	.p2align	8
	.type	_Z21sort_keys_values_fullILj256ELj8ELj4ELb1ExsN10test_utils4lessEEvPT3_PT4_T5_,@function
_Z21sort_keys_values_fullILj256ELj8ELj4ELb1ExsN10test_utils4lessEEvPT3_PT4_T5_: ; @_Z21sort_keys_values_fullILj256ELj8ELj4ELb1ExsN10test_utils4lessEEvPT3_PT4_T5_
; %bb.0:
	s_load_b128 s[4:7], s[0:1], 0x0
	s_wait_xcnt 0x0
	s_bfe_u32 s0, ttmp6, 0x4000c
	s_and_b32 s1, ttmp6, 15
	s_add_co_i32 s0, s0, 1
	s_getreg_b32 s2, hwreg(HW_REG_IB_STS2, 6, 4)
	s_mul_i32 s0, ttmp9, s0
	v_lshlrev_b32_e32 v10, 5, v0
	s_add_co_i32 s1, s1, s0
	s_cmp_eq_u32 s2, 0
	v_mbcnt_lo_u32_b32 v1, -1, 0
	s_cselect_b32 s0, ttmp9, s1
	s_mov_b32 s1, 0
	s_lshl_b32 s0, s0, 10
	s_delay_alu instid0(VALU_DEP_1) | instskip(SKIP_1) | instid1(VALU_DEP_1)
	v_dual_mov_b32 v11, 0 :: v_dual_lshlrev_b32 v43, 2, v1
	s_lshl_b64 s[2:3], s[0:1], 3
	v_dual_lshlrev_b32 v26, 3, v0 :: v_dual_bitop2_b32 v32, 24, v43 bitop3:0x40
	s_wait_kmcnt 0x0
	s_add_nc_u64 s[2:3], s[4:5], s[2:3]
	s_lshl_b64 s[4:5], s[0:1], 1
	s_clause 0x1
	global_load_b128 v[6:9], v10, s[2:3]
	global_load_b128 v[2:5], v10, s[2:3] offset:16
	s_add_nc_u64 s[4:5], s[6:7], s[4:5]
	v_and_b32_e32 v41, 28, v43
	global_load_b64 v[22:23], v0, s[4:5] scale_offset
	s_wait_xcnt 0x0
	v_lshrrev_b32_e32 v0, 3, v0
	v_dual_mov_b32 v27, v11 :: v_dual_bitop2_b32 v44, 4, v32 bitop3:0x54
	v_dual_lshlrev_b32 v1, 3, v41 :: v_dual_bitop2_b32 v28, 4, v43 bitop3:0x40
	s_mov_b32 s6, exec_lo
	; wave barrier
	s_delay_alu instid0(VALU_DEP_1)
	v_mad_u32_u24 v42, 0x108, v0, v1
	s_wait_loadcnt 0x2
	v_max_i64 v[14:15], v[8:9], v[6:7]
	s_wait_loadcnt 0x1
	v_min_i64 v[24:25], v[4:5], v[2:3]
	v_max_i64 v[16:17], v[4:5], v[2:3]
	v_min_i64 v[30:31], v[8:9], v[6:7]
	s_delay_alu instid0(VALU_DEP_3) | instskip(SKIP_1) | instid1(VALU_DEP_3)
	v_max_i64 v[12:13], v[24:25], v[14:15]
	v_min_i64 v[34:35], v[24:25], v[14:15]
	v_cmp_lt_i64_e32 vcc_lo, v[24:25], v[30:31]
	s_delay_alu instid0(VALU_DEP_3) | instskip(NEXT) | instid1(VALU_DEP_3)
	v_min_i64 v[18:19], v[16:17], v[12:13]
	v_dual_cndmask_b32 v21, v35, v31 :: v_dual_cndmask_b32 v20, v34, v30
	v_max_i64 v[38:39], v[16:17], v[12:13]
	v_dual_sub_nc_u32 v12, v44, v32 :: v_dual_lshlrev_b32 v13, 3, v32
	v_cndmask_b32_e32 v37, v31, v35, vcc_lo
	v_dual_mov_b32 v33, v11 :: v_dual_cndmask_b32 v36, v30, v34
	s_delay_alu instid0(VALU_DEP_3) | instskip(NEXT) | instid1(VALU_DEP_4)
	v_min_i32_e32 v12, v28, v12
	v_mad_u32_u24 v1, 0x108, v0, v13
	v_min_i64 v[46:47], v[18:19], v[20:21]
	v_max_i64 v[48:49], v[18:19], v[20:21]
	ds_store_2addr_b64 v42, v[36:37], v[46:47] offset1:1
	ds_store_2addr_b64 v42, v[48:49], v[38:39] offset0:2 offset1:3
	; wave barrier
	v_cmpx_lt_i32_e32 0, v12
	s_cbranch_execz .LBB34_4
; %bb.1:
	v_lshl_add_u32 v13, v28, 3, v1
	v_mov_b32_e32 v33, v11
.LBB34_2:                               ; =>This Inner Loop Header: Depth=1
	s_delay_alu instid0(VALU_DEP_1) | instskip(NEXT) | instid1(VALU_DEP_1)
	v_sub_nc_u32_e32 v29, v12, v33
	v_lshrrev_b32_e32 v29, 1, v29
	s_delay_alu instid0(VALU_DEP_1) | instskip(NEXT) | instid1(VALU_DEP_1)
	v_add_nc_u32_e32 v29, v29, v33
	v_not_b32_e32 v30, v29
	v_lshl_add_u32 v31, v29, 3, v1
	s_delay_alu instid0(VALU_DEP_2) | instskip(SKIP_4) | instid1(VALU_DEP_1)
	v_lshl_add_u32 v34, v30, 3, v13
	ds_load_b64 v[30:31], v31
	ds_load_b64 v[34:35], v34 offset:32
	s_wait_dscnt 0x0
	v_cmp_lt_i64_e64 s0, v[34:35], v[30:31]
	v_dual_add_nc_u32 v30, 1, v29 :: v_dual_cndmask_b32 v12, v12, v29, s0
	s_delay_alu instid0(VALU_DEP_1) | instskip(NEXT) | instid1(VALU_DEP_1)
	v_cndmask_b32_e64 v33, v30, v33, s0
	v_cmp_ge_i32_e64 s0, v33, v12
	s_or_b32 s1, s0, s1
	s_delay_alu instid0(SALU_CYCLE_1)
	s_and_not1_b32 exec_lo, exec_lo, s1
	s_cbranch_execnz .LBB34_2
; %bb.3:
	s_or_b32 exec_lo, exec_lo, s1
.LBB34_4:
	s_delay_alu instid0(SALU_CYCLE_1)
	s_or_b32 exec_lo, exec_lo, s6
	v_mul_u32_u24_e32 v40, 0x108, v0
	v_add_nc_u32_e32 v0, v32, v28
	v_lshl_add_u32 v30, v33, 3, v1
	v_add_nc_u64_e32 v[12:13], s[2:3], v[10:11]
	v_add_nc_u64_e32 v[10:11], s[4:5], v[26:27]
	s_delay_alu instid0(VALU_DEP_4) | instskip(SKIP_2) | instid1(VALU_DEP_3)
	v_dual_add_nc_u32 v45, 8, v32 :: v_dual_sub_nc_u32 v0, v0, v33
	v_add_nc_u32_e32 v28, v44, v28
	v_cmp_lt_i32_e64 s1, 3, v33
	v_lshl_add_u32 v34, v0, 3, v40
	s_delay_alu instid0(VALU_DEP_3)
	v_sub_nc_u32_e32 v46, v28, v33
                                        ; implicit-def: $vgpr28_vgpr29
	ds_load_b64 v[0:1], v30
	ds_load_b64 v[26:27], v34 offset:32
	v_cmp_gt_i32_e64 s2, v45, v46
	s_wait_dscnt 0x0
	v_cmp_lt_i64_e64 s0, v[26:27], v[0:1]
	s_or_b32 s0, s1, s0
	s_delay_alu instid0(SALU_CYCLE_1) | instskip(NEXT) | instid1(SALU_CYCLE_1)
	s_and_b32 s0, s2, s0
	s_xor_b32 s1, s0, -1
	s_delay_alu instid0(SALU_CYCLE_1) | instskip(NEXT) | instid1(SALU_CYCLE_1)
	s_and_saveexec_b32 s2, s1
	s_xor_b32 s1, exec_lo, s2
; %bb.5:
	ds_load_b64 v[28:29], v30 offset:8
                                        ; implicit-def: $vgpr34
; %bb.6:
	s_or_saveexec_b32 s1, s1
	v_mov_b64_e32 v[30:31], v[26:27]
	s_xor_b32 exec_lo, exec_lo, s1
	s_cbranch_execz .LBB34_8
; %bb.7:
	ds_load_b64 v[30:31], v34 offset:40
	s_wait_dscnt 0x1
	v_mov_b64_e32 v[28:29], v[0:1]
.LBB34_8:
	s_or_b32 exec_lo, exec_lo, s1
	v_dual_add_nc_u32 v47, v33, v32 :: v_dual_add_nc_u32 v33, 1, v46
	s_wait_dscnt 0x0
	s_delay_alu instid0(VALU_DEP_2) | instskip(NEXT) | instid1(VALU_DEP_2)
	v_cmp_lt_i64_e64 s1, v[30:31], v[28:29]
	v_dual_add_nc_u32 v32, 1, v47 :: v_dual_cndmask_b32 v49, v46, v33, s0
	s_delay_alu instid0(VALU_DEP_1) | instskip(NEXT) | instid1(VALU_DEP_2)
	v_cndmask_b32_e64 v48, v32, v47, s0
	v_cmp_lt_i32_e64 s3, v49, v45
                                        ; implicit-def: $vgpr32_vgpr33
	s_delay_alu instid0(VALU_DEP_2) | instskip(SKIP_1) | instid1(SALU_CYCLE_1)
	v_cmp_ge_i32_e64 s2, v48, v44
	s_or_b32 s1, s2, s1
	s_and_b32 s1, s3, s1
	s_delay_alu instid0(SALU_CYCLE_1) | instskip(NEXT) | instid1(SALU_CYCLE_1)
	s_xor_b32 s2, s1, -1
	s_and_saveexec_b32 s3, s2
	s_delay_alu instid0(SALU_CYCLE_1)
	s_xor_b32 s2, exec_lo, s3
; %bb.9:
	v_lshl_add_u32 v32, v48, 3, v40
	ds_load_b64 v[32:33], v32 offset:8
; %bb.10:
	s_or_saveexec_b32 s2, s2
	v_mov_b64_e32 v[34:35], v[30:31]
	s_xor_b32 exec_lo, exec_lo, s2
	s_cbranch_execz .LBB34_12
; %bb.11:
	s_wait_dscnt 0x0
	v_lshl_add_u32 v32, v49, 3, v40
	ds_load_b64 v[34:35], v32 offset:8
	v_mov_b64_e32 v[32:33], v[28:29]
.LBB34_12:
	s_or_b32 exec_lo, exec_lo, s2
	v_dual_add_nc_u32 v36, 1, v48 :: v_dual_add_nc_u32 v37, 1, v49
	s_wait_dscnt 0x0
	s_delay_alu instid0(VALU_DEP_2) | instskip(NEXT) | instid1(VALU_DEP_2)
	v_cmp_lt_i64_e64 s2, v[34:35], v[32:33]
	v_dual_cndmask_b32 v50, v36, v48, s1 :: v_dual_cndmask_b32 v51, v49, v37, s1
                                        ; implicit-def: $vgpr36_vgpr37
	s_delay_alu instid0(VALU_DEP_1) | instskip(NEXT) | instid1(VALU_DEP_2)
	v_cmp_ge_i32_e64 s3, v50, v44
	v_cmp_lt_i32_e64 s4, v51, v45
	s_or_b32 s2, s3, s2
	s_delay_alu instid0(SALU_CYCLE_1) | instskip(NEXT) | instid1(SALU_CYCLE_1)
	s_and_b32 s2, s4, s2
	s_xor_b32 s3, s2, -1
	s_delay_alu instid0(SALU_CYCLE_1) | instskip(NEXT) | instid1(SALU_CYCLE_1)
	s_and_saveexec_b32 s4, s3
	s_xor_b32 s3, exec_lo, s4
; %bb.13:
	v_lshl_add_u32 v36, v50, 3, v40
	ds_load_b64 v[36:37], v36 offset:8
; %bb.14:
	s_or_saveexec_b32 s3, s3
	v_mov_b64_e32 v[38:39], v[34:35]
	s_xor_b32 exec_lo, exec_lo, s3
	s_cbranch_execz .LBB34_16
; %bb.15:
	s_wait_dscnt 0x0
	v_lshl_add_u32 v36, v51, 3, v40
	ds_load_b64 v[38:39], v36 offset:8
	v_mov_b64_e32 v[36:37], v[32:33]
.LBB34_16:
	s_or_b32 exec_lo, exec_lo, s3
	v_cmp_lt_i64_e64 s3, v[8:9], v[6:7]
	s_wait_loadcnt 0x0
	v_alignbit_b32 v52, v22, v22, 16
	v_alignbit_b32 v53, v23, v23, 16
	v_cmp_gt_i64_e64 s4, v[14:15], v[16:17]
	v_cmp_lt_i64_e64 s5, v[18:19], v[20:21]
	v_dual_cndmask_b32 v8, v50, v51, s2 :: v_dual_cndmask_b32 v9, v48, v49, s1
	v_cndmask_b32_e64 v6, v22, v52, s3
	v_cmp_lt_i64_e64 s3, v[4:5], v[2:3]
	v_dual_add_nc_u32 v4, 1, v51 :: v_dual_add_nc_u32 v7, 1, v50
	; wave barrier
	s_delay_alu instid0(VALU_DEP_1) | instskip(NEXT) | instid1(VALU_DEP_3)
	v_dual_cndmask_b32 v17, v1, v27, s0 :: v_dual_cndmask_b32 v4, v51, v4, s2
	v_cndmask_b32_e64 v2, v23, v53, s3
	v_cmp_lt_i64_e64 s3, v[24:25], v[14:15]
	v_mad_i32_i24 v15, v41, -6, v42
	s_delay_alu instid0(VALU_DEP_3) | instskip(SKIP_1) | instid1(VALU_DEP_2)
	v_perm_b32 v3, v2, v6, 0x7060302
	v_perm_b32 v5, v2, v6, 0x5040100
	v_cndmask_b32_e64 v2, v2, v3, s3
	s_delay_alu instid0(VALU_DEP_2) | instskip(SKIP_2) | instid1(VALU_DEP_3)
	v_dual_cndmask_b32 v3, v6, v5, s3 :: v_dual_cndmask_b32 v6, v47, v46, s0
	s_wait_dscnt 0x0
	v_cmp_lt_i64_e64 s3, v[38:39], v[36:37]
	v_alignbit_b32 v5, v2, v2, 16
	s_delay_alu instid0(VALU_DEP_3) | instskip(NEXT) | instid1(VALU_DEP_2)
	v_alignbit_b32 v22, v3, v3, 16
	v_dual_cndmask_b32 v7, v7, v50, s2 :: v_dual_cndmask_b32 v2, v2, v5, s4
	s_delay_alu instid0(VALU_DEP_2) | instskip(NEXT) | instid1(VALU_DEP_2)
	v_cndmask_b32_e32 v14, v3, v22, vcc_lo
	v_cmp_ge_i32_e32 vcc_lo, v7, v44
	v_cmp_lt_i32_e64 s4, v4, v45
	s_or_b32 s3, vcc_lo, s3
	s_delay_alu instid0(SALU_CYCLE_1) | instskip(SKIP_3) | instid1(VALU_DEP_2)
	s_and_b32 vcc_lo, s4, s3
	v_cndmask_b32_e32 v3, v37, v39, vcc_lo
	v_perm_b32 v5, v2, v14, 0x7060302
	v_perm_b32 v16, v2, v14, 0x5040100
	v_dual_cndmask_b32 v7, v7, v4, vcc_lo :: v_dual_cndmask_b32 v5, v2, v5, s5
	s_delay_alu instid0(VALU_DEP_2)
	v_cndmask_b32_e64 v4, v14, v16, s5
	v_lshl_add_u32 v2, v6, 1, v40
	v_lshl_add_u32 v6, v9, 1, v40
	;; [unrolled: 1-line block ×4, first 2 shown]
	v_and_b32_e32 v8, 16, v43
	ds_store_b64 v15, v[4:5]
	; wave barrier
	ds_load_u16 v21, v2
	ds_load_u16 v22, v6
	;; [unrolled: 1-line block ×4, first 2 shown]
	v_dual_cndmask_b32 v7, v33, v35, s2 :: v_dual_bitop2_b32 v20, 8, v8 bitop3:0x54
	v_dual_cndmask_b32 v6, v32, v34, s2 :: v_dual_bitop2_b32 v4, 12, v43 bitop3:0x40
	s_delay_alu instid0(VALU_DEP_2) | instskip(SKIP_2) | instid1(VALU_DEP_4)
	v_dual_cndmask_b32 v15, v29, v31, s1 :: v_dual_sub_nc_u32 v2, v20, v8
	v_cndmask_b32_e64 v14, v28, v30, s1
	v_cndmask_b32_e64 v16, v0, v26, s0
	v_sub_nc_u32_e64 v9, v4, 8 clamp
	v_lshl_add_u32 v0, v8, 3, v40
	v_min_i32_e32 v1, v4, v2
	v_cndmask_b32_e32 v2, v36, v38, vcc_lo
	s_mov_b32 s0, exec_lo
	; wave barrier
	ds_store_2addr_b64 v42, v[16:17], v[14:15] offset1:1
	ds_store_2addr_b64 v42, v[6:7], v[2:3] offset0:2 offset1:3
	; wave barrier
	v_cmpx_lt_i32_e64 v9, v1
	s_cbranch_execz .LBB34_20
; %bb.17:
	v_lshl_add_u32 v2, v4, 3, v0
	s_mov_b32 s1, 0
.LBB34_18:                              ; =>This Inner Loop Header: Depth=1
	v_sub_nc_u32_e32 v3, v1, v9
	s_delay_alu instid0(VALU_DEP_1) | instskip(NEXT) | instid1(VALU_DEP_1)
	v_lshrrev_b32_e32 v3, 1, v3
	v_add_nc_u32_e32 v3, v3, v9
	s_delay_alu instid0(VALU_DEP_1) | instskip(SKIP_1) | instid1(VALU_DEP_2)
	v_not_b32_e32 v5, v3
	v_lshl_add_u32 v6, v3, 3, v0
	v_lshl_add_u32 v5, v5, 3, v2
	ds_load_b64 v[6:7], v6
	ds_load_b64 v[14:15], v5 offset:64
	s_wait_dscnt 0x0
	v_cmp_lt_i64_e32 vcc_lo, v[14:15], v[6:7]
	v_dual_add_nc_u32 v5, 1, v3 :: v_dual_cndmask_b32 v1, v1, v3, vcc_lo
	s_delay_alu instid0(VALU_DEP_1) | instskip(NEXT) | instid1(VALU_DEP_1)
	v_cndmask_b32_e32 v9, v5, v9, vcc_lo
	v_cmp_ge_i32_e32 vcc_lo, v9, v1
	s_or_b32 s1, vcc_lo, s1
	s_delay_alu instid0(SALU_CYCLE_1)
	s_and_not1_b32 exec_lo, exec_lo, s1
	s_cbranch_execnz .LBB34_18
; %bb.19:
	s_or_b32 exec_lo, exec_lo, s1
.LBB34_20:
	s_delay_alu instid0(SALU_CYCLE_1) | instskip(SKIP_4) | instid1(VALU_DEP_4)
	s_or_b32 exec_lo, exec_lo, s0
	v_add_nc_u32_e32 v1, v8, v4
	v_lshl_add_u32 v6, v9, 3, v0
	v_cmp_lt_i32_e64 s0, 7, v9
	v_mul_i32_i24_e32 v25, -6, v41
	v_dual_add_nc_u32 v4, v20, v4 :: v_dual_sub_nc_u32 v1, v1, v9
	s_delay_alu instid0(VALU_DEP_1) | instskip(NEXT) | instid1(VALU_DEP_2)
	v_dual_add_nc_u32 v26, 16, v8 :: v_dual_sub_nc_u32 v27, v4, v9
	v_lshl_add_u32 v14, v1, 3, v40
                                        ; implicit-def: $vgpr4_vgpr5
	ds_load_b64 v[0:1], v6
	ds_load_b64 v[2:3], v14 offset:64
	v_cmp_gt_i32_e64 s1, v26, v27
	s_wait_dscnt 0x0
	v_cmp_lt_i64_e32 vcc_lo, v[2:3], v[0:1]
	s_or_b32 s0, s0, vcc_lo
	s_delay_alu instid0(SALU_CYCLE_1) | instskip(NEXT) | instid1(SALU_CYCLE_1)
	s_and_b32 vcc_lo, s1, s0
	s_xor_b32 s0, vcc_lo, -1
	s_delay_alu instid0(SALU_CYCLE_1) | instskip(NEXT) | instid1(SALU_CYCLE_1)
	s_and_saveexec_b32 s1, s0
	s_xor_b32 s0, exec_lo, s1
; %bb.21:
	ds_load_b64 v[4:5], v6 offset:8
                                        ; implicit-def: $vgpr14
; %bb.22:
	s_or_saveexec_b32 s0, s0
	v_mov_b64_e32 v[6:7], v[2:3]
	s_xor_b32 exec_lo, exec_lo, s0
	s_cbranch_execz .LBB34_24
; %bb.23:
	ds_load_b64 v[6:7], v14 offset:72
	s_wait_dscnt 0x1
	v_mov_b64_e32 v[4:5], v[0:1]
.LBB34_24:
	s_or_b32 exec_lo, exec_lo, s0
	v_dual_add_nc_u32 v28, v9, v8 :: v_dual_add_nc_u32 v9, 1, v27
	s_wait_dscnt 0x0
	s_delay_alu instid0(VALU_DEP_2) | instskip(NEXT) | instid1(VALU_DEP_2)
	v_cmp_lt_i64_e64 s0, v[6:7], v[4:5]
	v_dual_add_nc_u32 v8, 1, v28 :: v_dual_cndmask_b32 v30, v27, v9, vcc_lo
	s_delay_alu instid0(VALU_DEP_1) | instskip(NEXT) | instid1(VALU_DEP_2)
	v_cndmask_b32_e32 v29, v8, v28, vcc_lo
	v_cmp_lt_i32_e64 s2, v30, v26
                                        ; implicit-def: $vgpr8_vgpr9
	s_delay_alu instid0(VALU_DEP_2) | instskip(SKIP_1) | instid1(SALU_CYCLE_1)
	v_cmp_ge_i32_e64 s1, v29, v20
	s_or_b32 s0, s1, s0
	s_and_b32 s0, s2, s0
	s_delay_alu instid0(SALU_CYCLE_1) | instskip(NEXT) | instid1(SALU_CYCLE_1)
	s_xor_b32 s1, s0, -1
	s_and_saveexec_b32 s2, s1
	s_delay_alu instid0(SALU_CYCLE_1)
	s_xor_b32 s1, exec_lo, s2
; %bb.25:
	v_lshl_add_u32 v8, v29, 3, v40
	ds_load_b64 v[8:9], v8 offset:8
; %bb.26:
	s_or_saveexec_b32 s1, s1
	v_mov_b64_e32 v[14:15], v[6:7]
	s_xor_b32 exec_lo, exec_lo, s1
	s_cbranch_execz .LBB34_28
; %bb.27:
	s_wait_dscnt 0x0
	v_lshl_add_u32 v8, v30, 3, v40
	ds_load_b64 v[14:15], v8 offset:8
	v_mov_b64_e32 v[8:9], v[4:5]
.LBB34_28:
	s_or_b32 exec_lo, exec_lo, s1
	v_dual_add_nc_u32 v16, 1, v29 :: v_dual_add_nc_u32 v17, 1, v30
	s_wait_dscnt 0x0
	s_delay_alu instid0(VALU_DEP_2) | instskip(NEXT) | instid1(VALU_DEP_2)
	v_cmp_lt_i64_e64 s1, v[14:15], v[8:9]
	v_cndmask_b32_e64 v32, v16, v29, s0
	s_delay_alu instid0(VALU_DEP_3) | instskip(NEXT) | instid1(VALU_DEP_2)
	v_cndmask_b32_e64 v31, v30, v17, s0
                                        ; implicit-def: $vgpr16_vgpr17
	v_cmp_ge_i32_e64 s2, v32, v20
	s_delay_alu instid0(VALU_DEP_2) | instskip(SKIP_1) | instid1(SALU_CYCLE_1)
	v_cmp_lt_i32_e64 s3, v31, v26
	s_or_b32 s1, s2, s1
	s_and_b32 s1, s3, s1
	s_delay_alu instid0(SALU_CYCLE_1) | instskip(NEXT) | instid1(SALU_CYCLE_1)
	s_xor_b32 s2, s1, -1
	s_and_saveexec_b32 s3, s2
	s_delay_alu instid0(SALU_CYCLE_1)
	s_xor_b32 s2, exec_lo, s3
; %bb.29:
	v_lshl_add_u32 v16, v32, 3, v40
	ds_load_b64 v[16:17], v16 offset:8
; %bb.30:
	s_or_saveexec_b32 s2, s2
	v_mov_b64_e32 v[18:19], v[14:15]
	s_xor_b32 exec_lo, exec_lo, s2
	s_cbranch_execz .LBB34_32
; %bb.31:
	s_wait_dscnt 0x0
	v_lshl_add_u32 v16, v31, 3, v40
	ds_load_b64 v[18:19], v16 offset:8
	v_mov_b64_e32 v[16:17], v[8:9]
.LBB34_32:
	s_or_b32 exec_lo, exec_lo, s2
	v_dual_add_nc_u32 v33, 1, v32 :: v_dual_add_nc_u32 v34, 1, v31
	v_dual_cndmask_b32 v35, v32, v31, s1 :: v_dual_cndmask_b32 v29, v29, v30, s0
	s_wait_dscnt 0x0
	s_delay_alu instid0(VALU_DEP_3) | instskip(NEXT) | instid1(VALU_DEP_3)
	v_cmp_lt_i64_e64 s2, v[18:19], v[16:17]
	v_dual_cndmask_b32 v30, v33, v32, s1 :: v_dual_cndmask_b32 v27, v28, v27, vcc_lo
	v_cndmask_b32_e64 v28, v31, v34, s1
	v_perm_b32 v23, v24, v23, 0x5040100
	v_perm_b32 v22, v22, v21, 0x5040100
	s_delay_alu instid0(VALU_DEP_4) | instskip(SKIP_4) | instid1(SALU_CYCLE_1)
	v_cmp_ge_i32_e64 s3, v30, v20
	v_add_nc_u32_e32 v20, v42, v25
	v_cmp_lt_i32_e64 s4, v28, v26
	v_lshl_add_u32 v21, v27, 1, v40
	s_or_b32 s2, s3, s2
	; wave barrier
	s_and_b32 s2, s4, s2
	ds_store_b64 v20, v[22:23]
	v_dual_cndmask_b32 v17, v17, v19, s2 :: v_dual_cndmask_b32 v19, v30, v28, s2
	v_lshl_add_u32 v22, v29, 1, v40
	v_lshl_add_u32 v23, v35, 1, v40
	; wave barrier
	s_delay_alu instid0(VALU_DEP_3)
	v_lshl_add_u32 v19, v19, 1, v40
	ds_load_u16 v21, v21
	ds_load_u16 v22, v22
	;; [unrolled: 1-line block ×4, first 2 shown]
	v_dual_cndmask_b32 v5, v5, v7, s0 :: v_dual_cndmask_b32 v4, v4, v6, s0
	v_dual_cndmask_b32 v3, v1, v3 :: v_dual_cndmask_b32 v2, v0, v2
	v_sub_nc_u32_e64 v25, v41, 16 clamp
	v_min_u32_e32 v1, 16, v41
	v_dual_cndmask_b32 v9, v9, v15, s1 :: v_dual_cndmask_b32 v8, v8, v14, s1
	v_cndmask_b32_e64 v16, v16, v18, s2
	s_mov_b32 s0, exec_lo
	; wave barrier
	ds_store_2addr_b64 v42, v[2:3], v[4:5] offset1:1
	ds_store_2addr_b64 v42, v[8:9], v[16:17] offset0:2 offset1:3
	; wave barrier
	v_cmpx_lt_u32_e64 v25, v1
	s_cbranch_execz .LBB34_36
; %bb.33:
	s_mov_b32 s1, 0
.LBB34_34:                              ; =>This Inner Loop Header: Depth=1
	v_sub_nc_u32_e32 v0, v1, v25
	s_delay_alu instid0(VALU_DEP_1) | instskip(NEXT) | instid1(VALU_DEP_1)
	v_lshrrev_b32_e32 v0, 1, v0
	v_add_nc_u32_e32 v0, v0, v25
	s_delay_alu instid0(VALU_DEP_1) | instskip(SKIP_1) | instid1(VALU_DEP_2)
	v_not_b32_e32 v2, v0
	v_lshl_add_u32 v3, v0, 3, v40
	v_lshl_add_u32 v4, v2, 3, v42
	ds_load_b64 v[2:3], v3
	ds_load_b64 v[4:5], v4 offset:128
	s_wait_dscnt 0x0
	v_cmp_lt_i64_e32 vcc_lo, v[4:5], v[2:3]
	v_dual_cndmask_b32 v1, v1, v0 :: v_dual_add_nc_u32 v2, 1, v0
	s_delay_alu instid0(VALU_DEP_1) | instskip(NEXT) | instid1(VALU_DEP_1)
	v_cndmask_b32_e32 v25, v2, v25, vcc_lo
	v_cmp_ge_i32_e32 vcc_lo, v25, v1
	s_or_b32 s1, vcc_lo, s1
	s_delay_alu instid0(SALU_CYCLE_1)
	s_and_not1_b32 exec_lo, exec_lo, s1
	s_cbranch_execnz .LBB34_34
; %bb.35:
	s_or_b32 exec_lo, exec_lo, s1
.LBB34_36:
	s_delay_alu instid0(SALU_CYCLE_1) | instskip(SKIP_3) | instid1(VALU_DEP_3)
	s_or_b32 exec_lo, exec_lo, s0
	v_sub_nc_u32_e32 v2, v41, v25
	v_lshl_add_u32 v1, v25, 3, v40
	v_cmp_lt_i32_e64 s0, 15, v25
                                        ; implicit-def: $vgpr8_vgpr9
	v_lshl_add_u32 v0, v2, 3, v40
	v_add_nc_u32_e32 v26, 16, v2
	ds_load_b64 v[4:5], v1
	ds_load_b64 v[6:7], v0 offset:128
	v_cmp_gt_i32_e64 s1, 32, v26
	s_wait_dscnt 0x0
	v_cmp_lt_i64_e32 vcc_lo, v[6:7], v[4:5]
	s_or_b32 s0, s0, vcc_lo
	s_delay_alu instid0(SALU_CYCLE_1) | instskip(NEXT) | instid1(SALU_CYCLE_1)
	s_and_b32 vcc_lo, s1, s0
	s_xor_b32 s0, vcc_lo, -1
	s_delay_alu instid0(SALU_CYCLE_1) | instskip(NEXT) | instid1(SALU_CYCLE_1)
	s_and_saveexec_b32 s1, s0
	s_xor_b32 s0, exec_lo, s1
; %bb.37:
	ds_load_b64 v[8:9], v1 offset:8
                                        ; implicit-def: $vgpr0
; %bb.38:
	s_or_saveexec_b32 s0, s0
	v_mov_b64_e32 v[14:15], v[6:7]
	s_xor_b32 exec_lo, exec_lo, s0
	s_cbranch_execz .LBB34_40
; %bb.39:
	ds_load_b64 v[14:15], v0 offset:136
	s_wait_dscnt 0x1
	v_mov_b64_e32 v[8:9], v[4:5]
.LBB34_40:
	s_or_b32 exec_lo, exec_lo, s0
	v_dual_add_nc_u32 v0, 1, v25 :: v_dual_add_nc_u32 v1, 1, v26
	s_wait_dscnt 0x0
	s_delay_alu instid0(VALU_DEP_2) | instskip(NEXT) | instid1(VALU_DEP_2)
	v_cmp_lt_i64_e64 s0, v[14:15], v[8:9]
                                        ; implicit-def: $vgpr18_vgpr19
	v_cndmask_b32_e32 v27, v0, v25, vcc_lo
	s_delay_alu instid0(VALU_DEP_3) | instskip(NEXT) | instid1(VALU_DEP_2)
	v_cndmask_b32_e32 v28, v26, v1, vcc_lo
	v_cmp_lt_i32_e64 s1, 15, v27
	s_delay_alu instid0(VALU_DEP_2) | instskip(SKIP_1) | instid1(SALU_CYCLE_1)
	v_cmp_gt_i32_e64 s2, 32, v28
	s_or_b32 s0, s1, s0
	s_and_b32 s0, s2, s0
	s_delay_alu instid0(SALU_CYCLE_1) | instskip(NEXT) | instid1(SALU_CYCLE_1)
	s_xor_b32 s1, s0, -1
	s_and_saveexec_b32 s2, s1
	s_delay_alu instid0(SALU_CYCLE_1)
	s_xor_b32 s1, exec_lo, s2
; %bb.41:
	v_lshl_add_u32 v0, v27, 3, v40
	ds_load_b64 v[18:19], v0 offset:8
; %bb.42:
	s_or_saveexec_b32 s1, s1
	v_mov_b64_e32 v[2:3], v[14:15]
	s_xor_b32 exec_lo, exec_lo, s1
	s_cbranch_execz .LBB34_44
; %bb.43:
	v_lshl_add_u32 v0, v28, 3, v40
	s_wait_dscnt 0x0
	v_mov_b64_e32 v[18:19], v[8:9]
	ds_load_b64 v[2:3], v0 offset:8
.LBB34_44:
	s_or_b32 exec_lo, exec_lo, s1
	v_dual_add_nc_u32 v0, 1, v27 :: v_dual_add_nc_u32 v1, 1, v28
	s_wait_dscnt 0x0
	s_delay_alu instid0(VALU_DEP_2) | instskip(NEXT) | instid1(VALU_DEP_2)
	v_cmp_ge_i64_e64 s1, v[2:3], v[18:19]
                                        ; implicit-def: $vgpr16_vgpr17
                                        ; implicit-def: $vgpr30
	v_cndmask_b32_e64 v32, v0, v27, s0
	s_delay_alu instid0(VALU_DEP_3) | instskip(NEXT) | instid1(VALU_DEP_2)
	v_cndmask_b32_e64 v29, v28, v1, s0
	v_cmp_gt_i32_e64 s2, 16, v32
	s_delay_alu instid0(VALU_DEP_2) | instskip(SKIP_1) | instid1(SALU_CYCLE_1)
	v_cmp_lt_i32_e64 s3, 31, v29
	s_and_b32 s1, s2, s1
	s_or_b32 s1, s3, s1
	s_delay_alu instid0(SALU_CYCLE_1) | instskip(NEXT) | instid1(SALU_CYCLE_1)
	s_and_saveexec_b32 s2, s1
	s_xor_b32 s1, exec_lo, s2
; %bb.45:
	v_lshl_add_u32 v0, v32, 3, v40
	v_add_nc_u32_e32 v30, 1, v32
	ds_load_b64 v[16:17], v0 offset:8
; %bb.46:
	s_or_saveexec_b32 s1, s1
	v_mov_b64_e32 v[0:1], v[18:19]
	v_mov_b32_e32 v31, v32
	s_xor_b32 exec_lo, exec_lo, s1
	s_cbranch_execz .LBB34_48
; %bb.47:
	v_lshl_add_u32 v0, v29, 3, v40
	s_wait_dscnt 0x0
	v_dual_mov_b32 v31, v29 :: v_dual_add_nc_u32 v16, 1, v29
	v_mov_b32_e32 v30, v32
	ds_load_b64 v[34:35], v0 offset:8
	v_mov_b64_e32 v[0:1], v[2:3]
	v_mov_b32_e32 v29, v16
	v_mov_b64_e32 v[16:17], v[18:19]
	s_wait_dscnt 0x0
	v_mov_b64_e32 v[2:3], v[34:35]
.LBB34_48:
	s_or_b32 exec_lo, exec_lo, s1
	s_wait_dscnt 0x0
	s_delay_alu instid0(VALU_DEP_1)
	v_cmp_lt_i64_e64 s1, v[2:3], v[16:17]
	v_cmp_lt_i32_e64 s2, 15, v30
	v_cmp_gt_i32_e64 s3, 32, v29
	v_dual_cndmask_b32 v27, v27, v28, s0 :: v_dual_cndmask_b32 v25, v25, v26, vcc_lo
	v_perm_b32 v19, v24, v23, 0x5040100
	v_perm_b32 v18, v22, v21, 0x5040100
	s_or_b32 s1, s2, s1
	s_delay_alu instid0(SALU_CYCLE_1) | instskip(NEXT) | instid1(SALU_CYCLE_1)
	s_and_b32 s1, s3, s1
	; wave barrier
	v_dual_cndmask_b32 v3, v17, v3, s1 :: v_dual_cndmask_b32 v17, v30, v29, s1
	ds_store_b64 v20, v[18:19]
	v_lshl_add_u32 v18, v25, 1, v40
	v_lshl_add_u32 v19, v31, 1, v40
	;; [unrolled: 1-line block ×4, first 2 shown]
	; wave barrier
	ds_load_u16 v18, v18
	ds_load_u16 v19, v19
	ds_load_u16 v17, v17
	ds_load_u16 v20, v20
	v_dual_cndmask_b32 v9, v9, v15, s0 :: v_dual_cndmask_b32 v8, v8, v14, s0
	v_dual_cndmask_b32 v7, v5, v7 :: v_dual_cndmask_b32 v6, v4, v6
	v_cndmask_b32_e64 v2, v16, v2, s1
	s_wait_dscnt 0x1
	v_perm_b32 v5, v17, v19, 0x5040100
	s_wait_dscnt 0x0
	v_perm_b32 v4, v20, v18, 0x5040100
	s_clause 0x1
	global_store_b128 v[12:13], v[6:9], off
	global_store_b128 v[12:13], v[0:3], off offset:16
	global_store_b64 v[10:11], v[4:5], off
	s_endpgm
	.section	.rodata,"a",@progbits
	.p2align	6, 0x0
	.amdhsa_kernel _Z21sort_keys_values_fullILj256ELj8ELj4ELb1ExsN10test_utils4lessEEvPT3_PT4_T5_
		.amdhsa_group_segment_fixed_size 8448
		.amdhsa_private_segment_fixed_size 0
		.amdhsa_kernarg_size 20
		.amdhsa_user_sgpr_count 2
		.amdhsa_user_sgpr_dispatch_ptr 0
		.amdhsa_user_sgpr_queue_ptr 0
		.amdhsa_user_sgpr_kernarg_segment_ptr 1
		.amdhsa_user_sgpr_dispatch_id 0
		.amdhsa_user_sgpr_kernarg_preload_length 0
		.amdhsa_user_sgpr_kernarg_preload_offset 0
		.amdhsa_user_sgpr_private_segment_size 0
		.amdhsa_wavefront_size32 1
		.amdhsa_uses_dynamic_stack 0
		.amdhsa_enable_private_segment 0
		.amdhsa_system_sgpr_workgroup_id_x 1
		.amdhsa_system_sgpr_workgroup_id_y 0
		.amdhsa_system_sgpr_workgroup_id_z 0
		.amdhsa_system_sgpr_workgroup_info 0
		.amdhsa_system_vgpr_workitem_id 0
		.amdhsa_next_free_vgpr 54
		.amdhsa_next_free_sgpr 8
		.amdhsa_named_barrier_count 0
		.amdhsa_reserve_vcc 1
		.amdhsa_float_round_mode_32 0
		.amdhsa_float_round_mode_16_64 0
		.amdhsa_float_denorm_mode_32 3
		.amdhsa_float_denorm_mode_16_64 3
		.amdhsa_fp16_overflow 0
		.amdhsa_memory_ordered 1
		.amdhsa_forward_progress 1
		.amdhsa_inst_pref_size 26
		.amdhsa_round_robin_scheduling 0
		.amdhsa_exception_fp_ieee_invalid_op 0
		.amdhsa_exception_fp_denorm_src 0
		.amdhsa_exception_fp_ieee_div_zero 0
		.amdhsa_exception_fp_ieee_overflow 0
		.amdhsa_exception_fp_ieee_underflow 0
		.amdhsa_exception_fp_ieee_inexact 0
		.amdhsa_exception_int_div_zero 0
	.end_amdhsa_kernel
	.section	.text._Z21sort_keys_values_fullILj256ELj8ELj4ELb1ExsN10test_utils4lessEEvPT3_PT4_T5_,"axG",@progbits,_Z21sort_keys_values_fullILj256ELj8ELj4ELb1ExsN10test_utils4lessEEvPT3_PT4_T5_,comdat
.Lfunc_end34:
	.size	_Z21sort_keys_values_fullILj256ELj8ELj4ELb1ExsN10test_utils4lessEEvPT3_PT4_T5_, .Lfunc_end34-_Z21sort_keys_values_fullILj256ELj8ELj4ELb1ExsN10test_utils4lessEEvPT3_PT4_T5_
                                        ; -- End function
	.set _Z21sort_keys_values_fullILj256ELj8ELj4ELb1ExsN10test_utils4lessEEvPT3_PT4_T5_.num_vgpr, 54
	.set _Z21sort_keys_values_fullILj256ELj8ELj4ELb1ExsN10test_utils4lessEEvPT3_PT4_T5_.num_agpr, 0
	.set _Z21sort_keys_values_fullILj256ELj8ELj4ELb1ExsN10test_utils4lessEEvPT3_PT4_T5_.numbered_sgpr, 8
	.set _Z21sort_keys_values_fullILj256ELj8ELj4ELb1ExsN10test_utils4lessEEvPT3_PT4_T5_.num_named_barrier, 0
	.set _Z21sort_keys_values_fullILj256ELj8ELj4ELb1ExsN10test_utils4lessEEvPT3_PT4_T5_.private_seg_size, 0
	.set _Z21sort_keys_values_fullILj256ELj8ELj4ELb1ExsN10test_utils4lessEEvPT3_PT4_T5_.uses_vcc, 1
	.set _Z21sort_keys_values_fullILj256ELj8ELj4ELb1ExsN10test_utils4lessEEvPT3_PT4_T5_.uses_flat_scratch, 0
	.set _Z21sort_keys_values_fullILj256ELj8ELj4ELb1ExsN10test_utils4lessEEvPT3_PT4_T5_.has_dyn_sized_stack, 0
	.set _Z21sort_keys_values_fullILj256ELj8ELj4ELb1ExsN10test_utils4lessEEvPT3_PT4_T5_.has_recursion, 0
	.set _Z21sort_keys_values_fullILj256ELj8ELj4ELb1ExsN10test_utils4lessEEvPT3_PT4_T5_.has_indirect_call, 0
	.section	.AMDGPU.csdata,"",@progbits
; Kernel info:
; codeLenInByte = 3256
; TotalNumSgprs: 10
; NumVgprs: 54
; ScratchSize: 0
; MemoryBound: 0
; FloatMode: 240
; IeeeMode: 1
; LDSByteSize: 8448 bytes/workgroup (compile time only)
; SGPRBlocks: 0
; VGPRBlocks: 3
; NumSGPRsForWavesPerEU: 10
; NumVGPRsForWavesPerEU: 54
; NamedBarCnt: 0
; Occupancy: 16
; WaveLimiterHint : 0
; COMPUTE_PGM_RSRC2:SCRATCH_EN: 0
; COMPUTE_PGM_RSRC2:USER_SGPR: 2
; COMPUTE_PGM_RSRC2:TRAP_HANDLER: 0
; COMPUTE_PGM_RSRC2:TGID_X_EN: 1
; COMPUTE_PGM_RSRC2:TGID_Y_EN: 0
; COMPUTE_PGM_RSRC2:TGID_Z_EN: 0
; COMPUTE_PGM_RSRC2:TIDIG_COMP_CNT: 0
	.section	.text._Z21sort_keys_values_fullILj256ELj32ELj8ELb0EN10test_utils16custom_test_typeIfEEiNS0_4lessEEvPT3_PT4_T5_,"axG",@progbits,_Z21sort_keys_values_fullILj256ELj32ELj8ELb0EN10test_utils16custom_test_typeIfEEiNS0_4lessEEvPT3_PT4_T5_,comdat
	.protected	_Z21sort_keys_values_fullILj256ELj32ELj8ELb0EN10test_utils16custom_test_typeIfEEiNS0_4lessEEvPT3_PT4_T5_ ; -- Begin function _Z21sort_keys_values_fullILj256ELj32ELj8ELb0EN10test_utils16custom_test_typeIfEEiNS0_4lessEEvPT3_PT4_T5_
	.globl	_Z21sort_keys_values_fullILj256ELj32ELj8ELb0EN10test_utils16custom_test_typeIfEEiNS0_4lessEEvPT3_PT4_T5_
	.p2align	8
	.type	_Z21sort_keys_values_fullILj256ELj32ELj8ELb0EN10test_utils16custom_test_typeIfEEiNS0_4lessEEvPT3_PT4_T5_,@function
_Z21sort_keys_values_fullILj256ELj32ELj8ELb0EN10test_utils16custom_test_typeIfEEiNS0_4lessEEvPT3_PT4_T5_: ; @_Z21sort_keys_values_fullILj256ELj32ELj8ELb0EN10test_utils16custom_test_typeIfEEiNS0_4lessEEvPT3_PT4_T5_
; %bb.0:
	s_load_b128 s[0:3], s[0:1], 0x0
	s_bfe_u32 s4, ttmp6, 0x4000c
	s_and_b32 s5, ttmp6, 15
	s_add_co_i32 s4, s4, 1
	s_getreg_b32 s6, hwreg(HW_REG_IB_STS2, 6, 4)
	s_mul_i32 s4, ttmp9, s4
	v_dual_lshlrev_b32 v26, 6, v0 :: v_dual_lshlrev_b32 v28, 5, v0
	s_add_co_i32 s5, s5, s4
	s_cmp_eq_u32 s6, 0
	s_cselect_b32 s4, ttmp9, s5
	s_mov_b32 s5, 0
	s_lshl_b32 s4, s4, 11
	s_delay_alu instid0(SALU_CYCLE_1)
	s_lshl_b64 s[6:7], s[4:5], 3
	s_wait_kmcnt 0x0
	s_add_nc_u64 s[6:7], s[0:1], s[6:7]
	s_lshl_b64 s[0:1], s[4:5], 2
	s_clause 0x1
	global_load_b128 v[10:13], v26, s[6:7]
	global_load_b128 v[18:21], v26, s[6:7] offset:16
	s_add_nc_u64 s[8:9], s[2:3], s[0:1]
	s_clause 0x1
	global_load_b128 v[22:25], v28, s[8:9]
	global_load_b128 v[6:9], v28, s[8:9] offset:16
	s_clause 0x1
	global_load_b128 v[2:5], v26, s[6:7] offset:48
	global_load_b128 v[14:17], v26, s[6:7] offset:32
	s_wait_loadcnt 0x5
	v_cmp_neq_f32_e32 vcc_lo, v12, v10
	v_cmp_nlt_f32_e64 s0, v13, v11
	s_wait_loadcnt 0x4
	v_cmp_neq_f32_e64 s1, v20, v18
	v_cmp_nlt_f32_e64 s2, v21, v19
	v_cmp_nlt_f32_e64 s3, v12, v10
	;; [unrolled: 1-line block ×3, first 2 shown]
	s_or_b32 s0, vcc_lo, s0
	s_or_b32 s1, s1, s2
	s_and_b32 s0, s3, s0
	s_and_b32 vcc_lo, s4, s1
	s_delay_alu instid0(SALU_CYCLE_1) | instskip(SKIP_3) | instid1(VALU_DEP_3)
	v_dual_cndmask_b32 v31, v11, v13, s0 :: v_dual_cndmask_b32 v33, v21, v19, vcc_lo
	v_dual_cndmask_b32 v30, v10, v12, s0 :: v_dual_cndmask_b32 v32, v20, v18, vcc_lo
	s_wait_loadcnt 0x3
	v_dual_cndmask_b32 v37, v22, v23, s0 :: v_dual_cndmask_b32 v29, v25, v24, vcc_lo
	v_cmp_lt_f32_e64 s2, v33, v31
	v_cndmask_b32_e32 v27, v24, v25, vcc_lo
	v_cmp_eq_f32_e64 s1, v32, v30
	v_cmp_lt_f32_e64 s3, v32, v30
	v_mov_b64_e32 v[24:25], v[32:33]
	v_mov_b32_e32 v1, v29
	s_and_b32 s1, s1, s2
	s_delay_alu instid0(SALU_CYCLE_1)
	s_or_b32 s2, s3, s1
	s_wait_xcnt 0x0
	s_and_saveexec_b32 s1, s2
; %bb.1:
	v_mov_b64_e32 v[24:25], v[30:31]
	v_mov_b64_e32 v[30:31], v[32:33]
	v_dual_mov_b32 v1, v37 :: v_dual_mov_b32 v37, v29
; %bb.2:
	s_or_b32 exec_lo, exec_lo, s1
	s_wait_loadcnt 0x0
	v_cmp_neq_f32_e64 s1, v16, v14
	v_cmp_nlt_f32_e64 s2, v17, v15
	v_cmp_nlt_f32_e64 s3, v16, v14
	v_cndmask_b32_e32 v33, v19, v21, vcc_lo
	s_or_b32 s1, s1, s2
	s_delay_alu instid0(SALU_CYCLE_1) | instskip(NEXT) | instid1(SALU_CYCLE_1)
	s_and_b32 s1, s3, s1
	v_dual_cndmask_b32 v32, v18, v20, vcc_lo :: v_dual_cndmask_b32 v35, v17, v15, s1
	v_cndmask_b32_e64 v34, v16, v14, s1
	v_dual_cndmask_b32 v36, v23, v22, s0 :: v_dual_cndmask_b32 v23, v6, v7, s1
	v_cndmask_b32_e64 v38, v7, v6, s1
	s_delay_alu instid0(VALU_DEP_4) | instskip(NEXT) | instid1(VALU_DEP_4)
	v_cmp_lt_f32_e64 s2, v35, v33
	v_cmp_eq_f32_e32 vcc_lo, v34, v32
	v_cmp_lt_f32_e64 s3, v34, v32
	v_mov_b64_e32 v[18:19], v[34:35]
	v_mov_b32_e32 v22, v27
	s_and_b32 s2, vcc_lo, s2
	s_delay_alu instid0(SALU_CYCLE_1) | instskip(NEXT) | instid1(SALU_CYCLE_1)
	s_or_b32 s3, s3, s2
	s_and_saveexec_b32 s2, s3
; %bb.3:
	v_mov_b64_e32 v[18:19], v[32:33]
	v_mov_b64_e32 v[32:33], v[34:35]
	v_dual_mov_b32 v22, v38 :: v_dual_mov_b32 v38, v27
; %bb.4:
	s_or_b32 exec_lo, exec_lo, s2
	v_cmp_neq_f32_e32 vcc_lo, v4, v2
	v_cmp_nlt_f32_e64 s2, v5, v3
	v_cmp_nlt_f32_e64 s3, v4, v2
	v_cndmask_b32_e64 v7, v15, v17, s1
	v_mov_b32_e32 v27, v23
	s_or_b32 s2, vcc_lo, s2
	s_delay_alu instid0(SALU_CYCLE_1) | instskip(NEXT) | instid1(SALU_CYCLE_1)
	s_and_b32 vcc_lo, s3, s2
	v_dual_cndmask_b32 v6, v14, v16, s1 :: v_dual_cndmask_b32 v21, v5, v3, vcc_lo
	v_dual_cndmask_b32 v20, v4, v2, vcc_lo :: v_dual_cndmask_b32 v34, v9, v8, vcc_lo
	s_delay_alu instid0(VALU_DEP_2) | instskip(NEXT) | instid1(VALU_DEP_3)
	v_mov_b64_e32 v[14:15], v[6:7]
	v_cmp_lt_f32_e64 s2, v21, v7
	s_delay_alu instid0(VALU_DEP_3) | instskip(SKIP_2) | instid1(SALU_CYCLE_1)
	v_cmp_eq_f32_e64 s1, v20, v6
	v_cmp_lt_f32_e64 s3, v20, v6
	s_and_b32 s1, s1, s2
	s_or_b32 s2, s3, s1
	s_delay_alu instid0(SALU_CYCLE_1)
	s_and_saveexec_b32 s1, s2
; %bb.5:
	v_mov_b64_e32 v[14:15], v[20:21]
	v_mov_b64_e32 v[20:21], v[6:7]
	v_dual_mov_b32 v27, v34 :: v_dual_mov_b32 v34, v23
; %bb.6:
	s_or_b32 exec_lo, exec_lo, s1
	v_dual_cndmask_b32 v7, v12, v10, s0 :: v_dual_cndmask_b32 v6, v13, v11, s0
	v_dual_mov_b32 v12, v31 :: v_dual_mov_b32 v13, v30
	v_mov_b32_e32 v29, v37
	s_delay_alu instid0(VALU_DEP_3) | instskip(NEXT) | instid1(VALU_DEP_4)
	v_cmp_eq_f32_e64 s0, v30, v7
	v_cmp_lt_f32_e64 s1, v31, v6
	v_cmp_lt_f32_e64 s2, v30, v7
	v_mov_b64_e32 v[10:11], v[12:13]
	s_and_b32 s0, s0, s1
	s_delay_alu instid0(SALU_CYCLE_1) | instskip(NEXT) | instid1(SALU_CYCLE_1)
	s_or_b32 s1, s2, s0
	s_and_saveexec_b32 s0, s1
; %bb.7:
	v_mov_b64_e32 v[10:11], v[6:7]
	v_mov_b64_e32 v[6:7], v[12:13]
	v_dual_mov_b32 v29, v36 :: v_dual_mov_b32 v36, v37
; %bb.8:
	s_or_b32 exec_lo, exec_lo, s0
	v_dual_cndmask_b32 v37, v8, v9 :: v_dual_mov_b32 v12, v33
	v_dual_mov_b32 v13, v32 :: v_dual_mov_b32 v16, v25
	v_cmp_eq_f32_e64 s0, v32, v24
	v_cmp_lt_f32_e64 s1, v33, v25
	v_cmp_lt_f32_e64 s2, v32, v24
	s_delay_alu instid0(VALU_DEP_4) | instskip(SKIP_2) | instid1(SALU_CYCLE_1)
	v_mov_b64_e32 v[8:9], v[12:13]
	v_dual_mov_b32 v17, v24 :: v_dual_mov_b32 v31, v22
	s_and_b32 s0, s0, s1
	s_or_b32 s1, s2, s0
	s_delay_alu instid0(SALU_CYCLE_1)
	s_and_saveexec_b32 s0, s1
; %bb.9:
	s_delay_alu instid0(VALU_DEP_1)
	v_mov_b64_e32 v[8:9], v[16:17]
	v_mov_b64_e32 v[16:17], v[12:13]
	v_dual_mov_b32 v31, v1 :: v_dual_mov_b32 v1, v22
; %bb.10:
	s_or_b32 exec_lo, exec_lo, s0
	v_cmp_eq_f32_e64 s0, v14, v18
	v_cmp_lt_f32_e64 s1, v15, v19
	v_cmp_lt_f32_e64 s2, v14, v18
	v_mov_b64_e32 v[22:23], v[18:19]
	v_mov_b32_e32 v30, v38
	s_and_b32 s0, s0, s1
	s_delay_alu instid0(SALU_CYCLE_1) | instskip(NEXT) | instid1(SALU_CYCLE_1)
	s_or_b32 s1, s2, s0
	s_and_saveexec_b32 s0, s1
; %bb.11:
	v_mov_b64_e32 v[22:23], v[14:15]
	v_mov_b64_e32 v[14:15], v[18:19]
	v_dual_mov_b32 v30, v27 :: v_dual_mov_b32 v27, v38
; %bb.12:
	s_or_b32 exec_lo, exec_lo, s0
	v_dual_cndmask_b32 v12, v2, v4 :: v_dual_cndmask_b32 v13, v3, v5
	v_mov_b64_e32 v[18:19], v[20:21]
	v_mov_b32_e32 v24, v34
	s_delay_alu instid0(VALU_DEP_3) | instskip(NEXT) | instid1(VALU_DEP_4)
	v_cmp_eq_f32_e32 vcc_lo, v12, v20
	v_cmp_lt_f32_e64 s0, v13, v21
	v_cmp_lt_f32_e64 s1, v12, v20
	s_and_b32 s0, vcc_lo, s0
	s_delay_alu instid0(SALU_CYCLE_1) | instskip(NEXT) | instid1(SALU_CYCLE_1)
	s_or_b32 s1, s1, s0
	s_and_saveexec_b32 s0, s1
; %bb.13:
	v_mov_b64_e32 v[18:19], v[12:13]
	v_mov_b64_e32 v[12:13], v[20:21]
	v_dual_mov_b32 v24, v37 :: v_dual_mov_b32 v37, v34
; %bb.14:
	s_or_b32 exec_lo, exec_lo, s0
	v_cmp_eq_f32_e32 vcc_lo, v17, v11
	v_cmp_lt_f32_e64 s0, v16, v10
	v_cmp_lt_f32_e64 s1, v17, v11
	v_mov_b64_e32 v[2:3], v[16:17]
	v_mov_b32_e32 v25, v1
	s_and_b32 s0, vcc_lo, s0
	s_delay_alu instid0(SALU_CYCLE_1) | instskip(NEXT) | instid1(SALU_CYCLE_1)
	s_or_b32 s1, s1, s0
	s_and_saveexec_b32 s0, s1
; %bb.15:
	v_mov_b64_e32 v[2:3], v[10:11]
	v_mov_b64_e32 v[10:11], v[16:17]
	v_dual_mov_b32 v25, v29 :: v_dual_mov_b32 v29, v1
; %bb.16:
	s_or_b32 exec_lo, exec_lo, s0
	v_cmp_eq_f32_e32 vcc_lo, v22, v9
	v_cmp_lt_f32_e64 s0, v23, v8
	v_cmp_lt_f32_e64 s1, v22, v9
	v_mov_b64_e32 v[16:17], v[8:9]
	v_dual_mov_b32 v4, v23 :: v_dual_mov_b32 v5, v22
	v_mov_b32_e32 v22, v31
	s_and_b32 s0, vcc_lo, s0
	s_delay_alu instid0(SALU_CYCLE_1) | instskip(NEXT) | instid1(SALU_CYCLE_1)
	s_or_b32 s1, s1, s0
	s_and_saveexec_b32 s0, s1
; %bb.17:
	v_mov_b64_e32 v[16:17], v[4:5]
	v_mov_b64_e32 v[4:5], v[8:9]
	v_dual_mov_b32 v22, v30 :: v_dual_mov_b32 v30, v31
; %bb.18:
	s_or_b32 exec_lo, exec_lo, s0
	v_cmp_eq_f32_e32 vcc_lo, v18, v14
	v_cmp_lt_f32_e64 s0, v19, v15
	v_cmp_lt_f32_e64 s1, v18, v14
	v_mov_b64_e32 v[8:9], v[14:15]
	v_mov_b32_e32 v1, v27
	s_and_b32 s0, vcc_lo, s0
	s_delay_alu instid0(SALU_CYCLE_1) | instskip(NEXT) | instid1(SALU_CYCLE_1)
	s_or_b32 s1, s1, s0
	s_and_saveexec_b32 s0, s1
; %bb.19:
	v_mov_b64_e32 v[8:9], v[18:19]
	v_mov_b64_e32 v[18:19], v[14:15]
	v_dual_mov_b32 v1, v24 :: v_dual_mov_b32 v24, v27
; %bb.20:
	s_or_b32 exec_lo, exec_lo, s0
	v_cmp_eq_f32_e32 vcc_lo, v11, v7
	v_cmp_lt_f32_e64 s0, v10, v6
	v_cmp_lt_f32_e64 s1, v11, v7
	v_mov_b64_e32 v[20:21], v[10:11]
	;; [unrolled: 15-line block ×3, first 2 shown]
	v_mov_b32_e32 v31, v22
	s_and_b32 s0, vcc_lo, s0
	s_delay_alu instid0(SALU_CYCLE_1) | instskip(NEXT) | instid1(SALU_CYCLE_1)
	s_or_b32 s1, s1, s0
	s_and_saveexec_b32 s0, s1
; %bb.23:
	v_mov_b64_e32 v[14:15], v[16:17]
	v_mov_b64_e32 v[16:17], v[2:3]
	v_dual_mov_b32 v31, v25 :: v_dual_mov_b32 v25, v22
; %bb.24:
	s_or_b32 exec_lo, exec_lo, s0
	v_dual_mov_b32 v10, v9 :: v_dual_mov_b32 v11, v8
	v_cmp_eq_f32_e32 vcc_lo, v8, v5
	v_cmp_lt_f32_e64 s0, v9, v4
	v_cmp_lt_f32_e64 s1, v8, v5
	v_mov_b32_e32 v29, v30
	v_mov_b64_e32 v[2:3], v[10:11]
	s_and_b32 s0, vcc_lo, s0
	s_delay_alu instid0(SALU_CYCLE_1) | instskip(NEXT) | instid1(SALU_CYCLE_1)
	s_or_b32 s1, s1, s0
	s_and_saveexec_b32 s0, s1
; %bb.25:
	v_mov_b64_e32 v[2:3], v[4:5]
	v_mov_b64_e32 v[4:5], v[10:11]
	v_dual_mov_b32 v29, v1 :: v_dual_mov_b32 v1, v30
; %bb.26:
	s_or_b32 exec_lo, exec_lo, s0
	v_dual_mov_b32 v10, v19 :: v_dual_mov_b32 v11, v18
	v_cmp_eq_f32_e32 vcc_lo, v12, v18
	v_cmp_lt_f32_e64 s0, v13, v19
	v_cmp_lt_f32_e64 s1, v12, v18
	v_dual_mov_b32 v8, v13 :: v_dual_mov_b32 v9, v12
	v_mov_b64_e32 v[22:23], v[10:11]
	v_mov_b32_e32 v30, v24
	s_and_b32 s0, vcc_lo, s0
	s_delay_alu instid0(SALU_CYCLE_1) | instskip(NEXT) | instid1(SALU_CYCLE_1)
	s_or_b32 s1, s1, s0
	s_and_saveexec_b32 s0, s1
; %bb.27:
	v_mov_b64_e32 v[22:23], v[8:9]
	v_mov_b64_e32 v[8:9], v[10:11]
	v_dual_mov_b32 v30, v37 :: v_dual_mov_b32 v37, v24
; %bb.28:
	s_or_b32 exec_lo, exec_lo, s0
	v_cmp_eq_f32_e32 vcc_lo, v15, v21
	v_cmp_lt_f32_e64 s0, v14, v20
	v_cmp_lt_f32_e64 s1, v15, v21
	v_mov_b64_e32 v[12:13], v[20:21]
	v_mov_b32_e32 v38, v25
	s_and_b32 s0, vcc_lo, s0
	s_delay_alu instid0(SALU_CYCLE_1) | instskip(NEXT) | instid1(SALU_CYCLE_1)
	s_or_b32 s1, s1, s0
	s_and_saveexec_b32 s0, s1
; %bb.29:
	v_mov_b64_e32 v[12:13], v[14:15]
	v_mov_b64_e32 v[14:15], v[20:21]
	v_dual_mov_b32 v38, v27 :: v_dual_mov_b32 v27, v25
; %bb.30:
	s_or_b32 exec_lo, exec_lo, s0
	v_cmp_eq_f32_e32 vcc_lo, v5, v17
	v_cmp_lt_f32_e64 s0, v4, v16
	v_cmp_lt_f32_e64 s1, v5, v17
	;; [unrolled: 15-line block ×6, first 2 shown]
	v_mov_b64_e32 v[14:15], v[4:5]
	v_mov_b32_e32 v42, v29
	s_and_b32 s0, vcc_lo, s0
	s_delay_alu instid0(SALU_CYCLE_1) | instskip(NEXT) | instid1(SALU_CYCLE_1)
	s_or_b32 s1, s1, s0
	s_and_saveexec_b32 s0, s1
; %bb.39:
	v_mov_b64_e32 v[14:15], v[2:3]
	v_mov_b64_e32 v[2:3], v[4:5]
	v_dual_mov_b32 v42, v39 :: v_dual_mov_b32 v39, v29
; %bb.40:
	s_or_b32 exec_lo, exec_lo, s0
	v_cmp_eq_f32_e64 s0, v9, v11
	v_cmp_lt_f32_e64 s1, v8, v10
	v_cmp_lt_f32_e32 vcc_lo, v9, v11
	v_mov_b64_e32 v[4:5], v[8:9]
	v_dual_mov_b32 v27, 0 :: v_dual_mov_b32 v20, v10
	v_dual_mov_b32 v1, v11 :: v_dual_mov_b32 v43, v30
	s_and_b32 s0, s0, s1
	s_delay_alu instid0(SALU_CYCLE_1) | instskip(NEXT) | instid1(SALU_CYCLE_1)
	s_or_b32 s1, vcc_lo, s0
	s_and_saveexec_b32 s0, s1
; %bb.41:
	v_mov_b64_e32 v[4:5], v[10:11]
	v_mov_b64_e32 v[10:11], v[8:9]
	v_dual_mov_b32 v20, v8 :: v_dual_mov_b32 v1, v9
	v_dual_mov_b32 v43, v37 :: v_dual_mov_b32 v37, v30
; %bb.42:
	s_or_b32 exec_lo, exec_lo, s0
	v_cmp_neq_f32_e32 vcc_lo, v7, v13
	v_cmp_nlt_f32_e64 s0, v6, v12
	v_cmp_nlt_f32_e64 s1, v7, v13
	;; [unrolled: 1-line block ×3, first 2 shown]
	v_dual_mov_b32 v29, v27 :: v_dual_lshrrev_b32 v8, 5, v0
	s_or_b32 s3, vcc_lo, s0
	v_cmp_neq_f32_e64 s0, v15, v19
	v_mbcnt_lo_u32_b32 v0, -1, 0
	s_and_b32 vcc_lo, s1, s3
	v_cmp_nlt_f32_e64 s1, v15, v19
	v_dual_cndmask_b32 v23, v6, v12 :: v_dual_cndmask_b32 v22, v7, v13
	s_or_b32 s0, s0, s2
	v_cmp_nlt_f32_e64 s2, v20, v2
	s_and_b32 s0, s1, s0
	s_delay_alu instid0(SALU_CYCLE_1) | instskip(SKIP_3) | instid1(VALU_DEP_4)
	v_dual_lshlrev_b32 v45, 3, v0 :: v_dual_cndmask_b32 v21, v18, v14, s0
	v_cmp_neq_f32_e64 s1, v1, v3
	v_dual_cndmask_b32 v25, v12, v6 :: v_dual_cndmask_b32 v24, v13, v7
	v_cmp_nlt_f32_e64 s3, v1, v3
	v_and_b32_e32 v6, 0xf0, v45
	s_or_b32 s1, s1, s2
	v_dual_cndmask_b32 v13, v14, v18, s0 :: v_dual_cndmask_b32 v12, v15, v19, s0
	s_and_b32 s1, s3, s1
	s_delay_alu instid0(SALU_CYCLE_1) | instskip(SKIP_3) | instid1(VALU_DEP_4)
	v_dual_lshlrev_b32 v0, 6, v0 :: v_dual_cndmask_b32 v14, v11, v3, s1
	v_dual_cndmask_b32 v20, v19, v15, s0 :: v_dual_bitop2_b32 v47, 8, v6 bitop3:0x54
	v_cndmask_b32_e64 v15, v10, v2, s1
	v_dual_cndmask_b32 v19, v2, v10, s1 :: v_dual_cndmask_b32 v18, v3, v11, s1
	v_mad_u32_u24 v46, 0x808, v8, v0
	v_dual_mov_b32 v2, v17 :: v_dual_bitop2_b32 v7, 8, v45 bitop3:0x40
	v_dual_mov_b32 v3, v16 :: v_dual_sub_nc_u32 v0, v47, v6
	v_lshlrev_b32_e32 v1, 3, v6
	; wave barrier
	s_delay_alu instid0(VALU_DEP_2)
	v_min_i32_e32 v0, v7, v0
	ds_store_2addr_b64 v46, v[2:3], v[22:23] offset1:1
	ds_store_2addr_b64 v46, v[24:25], v[12:13] offset0:2 offset1:3
	v_dual_mov_b32 v2, v5 :: v_dual_mov_b32 v3, v4
	v_mov_b32_e32 v4, v27
	v_mad_u32_u24 v5, 0x808, v8, v1
	s_mov_b32 s3, exec_lo
	ds_store_2addr_b64 v46, v[20:21], v[14:15] offset0:4 offset1:5
	ds_store_2addr_b64 v46, v[18:19], v[2:3] offset0:6 offset1:7
	; wave barrier
	v_cmpx_lt_i32_e32 0, v0
	s_cbranch_execz .LBB35_50
; %bb.43:
	v_lshl_add_u32 v1, v7, 3, v5
	v_mov_b32_e32 v4, 0
	s_mov_b32 s4, 0
                                        ; implicit-def: $sgpr5
	s_branch .LBB35_46
.LBB35_44:                              ;   in Loop: Header=BB35_46 Depth=1
	s_or_b32 exec_lo, exec_lo, s12
	s_delay_alu instid0(SALU_CYCLE_1) | instskip(SKIP_1) | instid1(SALU_CYCLE_1)
	s_and_not1_b32 s2, s5, exec_lo
	s_and_b32 s5, s11, exec_lo
	s_or_b32 s5, s2, s5
.LBB35_45:                              ;   in Loop: Header=BB35_46 Depth=1
	s_or_b32 exec_lo, exec_lo, s10
	v_dual_add_nc_u32 v3, 1, v2 :: v_dual_cndmask_b32 v0, v0, v2, s5
	s_delay_alu instid0(VALU_DEP_1) | instskip(NEXT) | instid1(VALU_DEP_1)
	v_cndmask_b32_e64 v4, v3, v4, s5
	v_cmp_ge_i32_e64 s2, v4, v0
	s_or_b32 s4, s2, s4
	s_delay_alu instid0(SALU_CYCLE_1)
	s_and_not1_b32 exec_lo, exec_lo, s4
	s_cbranch_execz .LBB35_49
.LBB35_46:                              ; =>This Inner Loop Header: Depth=1
	s_delay_alu instid0(VALU_DEP_1) | instskip(SKIP_2) | instid1(VALU_DEP_1)
	v_sub_nc_u32_e32 v2, v0, v4
	s_or_b32 s5, s5, exec_lo
	s_mov_b32 s10, exec_lo
	v_lshrrev_b32_e32 v2, 1, v2
	s_delay_alu instid0(VALU_DEP_1) | instskip(NEXT) | instid1(VALU_DEP_1)
	v_add_nc_u32_e32 v2, v2, v4
	v_not_b32_e32 v9, v2
	v_lshl_add_u32 v3, v2, 3, v5
	s_delay_alu instid0(VALU_DEP_2)
	v_lshl_add_u32 v9, v9, 3, v1
	ds_load_b32 v10, v3
	ds_load_b32 v11, v9 offset:64
	s_wait_dscnt 0x0
	v_cmpx_nlt_f32_e32 v11, v10
	s_cbranch_execz .LBB35_45
; %bb.47:                               ;   in Loop: Header=BB35_46 Depth=1
	s_mov_b32 s11, 0
	s_mov_b32 s12, exec_lo
	v_cmpx_eq_f32_e32 v11, v10
	s_cbranch_execz .LBB35_44
; %bb.48:                               ;   in Loop: Header=BB35_46 Depth=1
	ds_load_b32 v9, v9 offset:68
	ds_load_b32 v3, v3 offset:4
	s_wait_dscnt 0x0
	v_cmp_lt_f32_e64 s2, v9, v3
	s_and_b32 s11, s2, exec_lo
	s_branch .LBB35_44
.LBB35_49:
	s_or_b32 exec_lo, exec_lo, s4
.LBB35_50:
	s_delay_alu instid0(SALU_CYCLE_1) | instskip(SKIP_4) | instid1(VALU_DEP_3)
	s_or_b32 exec_lo, exec_lo, s3
	v_mul_u32_u24_e32 v44, 0x808, v8
	v_dual_add_nc_u32 v8, v6, v7 :: v_dual_add_nc_u32 v7, v47, v7
	v_add_nc_u64_e32 v[2:3], s[6:7], v[26:27]
	v_add_nc_u64_e32 v[0:1], s[8:9], v[28:29]
	v_dual_add_nc_u32 v49, 16, v6 :: v_dual_sub_nc_u32 v9, v8, v4
	v_lshl_add_u32 v8, v4, 3, v5
	v_sub_nc_u32_e32 v48, v7, v4
	s_delay_alu instid0(VALU_DEP_3) | instskip(SKIP_4) | instid1(SALU_CYCLE_1)
	v_lshl_add_u32 v5, v9, 3, v44
	ds_load_b64 v[12:13], v8
	ds_load_b64 v[14:15], v5 offset:64
	v_cmp_le_i32_e64 s2, v49, v48
	s_and_saveexec_b32 s3, s2
	s_xor_b32 s2, exec_lo, s3
	s_delay_alu instid0(SALU_CYCLE_1)
	s_or_saveexec_b32 s5, s2
	s_mov_b32 s4, 0
	s_xor_b32 exec_lo, exec_lo, s5
	s_cbranch_execz .LBB35_56
; %bb.51:
	v_cmp_gt_i32_e64 s2, 8, v4
	s_wait_dscnt 0x0
	v_cmp_nlt_f32_e64 s3, v14, v12
	s_and_b32 s4, s2, s3
	s_mov_b32 s2, -1
	s_and_saveexec_b32 s3, s4
	s_cbranch_execz .LBB35_55
; %bb.52:
	s_mov_b32 s4, 0
	s_mov_b32 s6, exec_lo
	v_cmpx_eq_f32_e32 v14, v12
; %bb.53:
	v_cmp_lt_f32_e64 s2, v15, v13
	s_and_b32 s4, s2, exec_lo
; %bb.54:
	s_or_b32 exec_lo, exec_lo, s6
	s_delay_alu instid0(SALU_CYCLE_1)
	s_or_not1_b32 s2, s4, exec_lo
.LBB35_55:
	s_or_b32 exec_lo, exec_lo, s3
	s_delay_alu instid0(SALU_CYCLE_1)
	s_and_b32 s4, s2, exec_lo
.LBB35_56:
	s_or_b32 exec_lo, exec_lo, s5
	s_xor_b32 s2, s4, -1
                                        ; implicit-def: $vgpr16_vgpr17
	s_delay_alu instid0(SALU_CYCLE_1) | instskip(NEXT) | instid1(SALU_CYCLE_1)
	s_and_saveexec_b32 s3, s2
	s_xor_b32 s2, exec_lo, s3
; %bb.57:
	ds_load_b64 v[16:17], v8 offset:8
                                        ; implicit-def: $vgpr5
; %bb.58:
	s_or_saveexec_b32 s2, s2
	s_wait_dscnt 0x0
	v_mov_b64_e32 v[18:19], v[14:15]
	s_xor_b32 exec_lo, exec_lo, s2
; %bb.59:
	ds_load_b64 v[18:19], v5 offset:72
	v_mov_b64_e32 v[16:17], v[12:13]
; %bb.60:
	s_or_b32 exec_lo, exec_lo, s2
	v_dual_add_nc_u32 v50, v4, v6 :: v_dual_add_nc_u32 v4, 1, v48
	s_mov_b32 s5, 0
	s_mov_b32 s6, exec_lo
	s_delay_alu instid0(VALU_DEP_1) | instskip(NEXT) | instid1(VALU_DEP_1)
	v_dual_add_nc_u32 v5, 1, v50 :: v_dual_cndmask_b32 v51, v48, v4, s4
	v_cndmask_b32_e64 v52, v5, v50, s4
	s_delay_alu instid0(VALU_DEP_2)
	v_cmpx_lt_i32_e64 v51, v49
	s_cbranch_execz .LBB35_66
; %bb.61:
	s_delay_alu instid0(VALU_DEP_2)
	v_cmp_lt_i32_e64 s2, v52, v47
	s_wait_dscnt 0x0
	v_cmp_nlt_f32_e64 s3, v18, v16
	s_and_b32 s5, s2, s3
	s_mov_b32 s2, -1
	s_and_saveexec_b32 s3, s5
	s_cbranch_execz .LBB35_65
; %bb.62:
	s_mov_b32 s5, 0
	s_mov_b32 s7, exec_lo
	v_cmpx_eq_f32_e32 v18, v16
; %bb.63:
	v_cmp_lt_f32_e64 s2, v19, v17
	s_and_b32 s5, s2, exec_lo
; %bb.64:
	s_or_b32 exec_lo, exec_lo, s7
	s_delay_alu instid0(SALU_CYCLE_1)
	s_or_not1_b32 s2, s5, exec_lo
.LBB35_65:
	s_or_b32 exec_lo, exec_lo, s3
	s_delay_alu instid0(SALU_CYCLE_1)
	s_and_b32 s5, s2, exec_lo
.LBB35_66:
	s_or_b32 exec_lo, exec_lo, s6
	s_xor_b32 s2, s5, -1
                                        ; implicit-def: $vgpr4_vgpr5
	s_delay_alu instid0(SALU_CYCLE_1) | instskip(NEXT) | instid1(SALU_CYCLE_1)
	s_and_saveexec_b32 s3, s2
	s_xor_b32 s2, exec_lo, s3
; %bb.67:
	v_lshl_add_u32 v4, v52, 3, v44
	ds_load_b64 v[4:5], v4 offset:8
; %bb.68:
	s_or_saveexec_b32 s2, s2
	s_wait_dscnt 0x0
	v_mov_b64_e32 v[6:7], v[18:19]
	s_xor_b32 exec_lo, exec_lo, s2
; %bb.69:
	v_lshl_add_u32 v4, v51, 3, v44
	ds_load_b64 v[6:7], v4 offset:8
	v_mov_b64_e32 v[4:5], v[16:17]
; %bb.70:
	s_or_b32 exec_lo, exec_lo, s2
	v_add_nc_u32_e32 v8, 1, v51
	s_delay_alu instid0(VALU_DEP_1) | instskip(SKIP_1) | instid1(VALU_DEP_2)
	v_cndmask_b32_e64 v53, v51, v8, s5
	v_add_nc_u32_e32 v8, 1, v52
	v_cmp_ge_i32_e64 s2, v53, v49
	s_and_saveexec_b32 s3, s2
	s_delay_alu instid0(SALU_CYCLE_1) | instskip(NEXT) | instid1(SALU_CYCLE_1)
	s_xor_b32 s2, exec_lo, s3
	s_or_saveexec_b32 s7, s2
	v_cndmask_b32_e64 v54, v8, v52, s5
	s_mov_b32 s6, 0
	s_xor_b32 exec_lo, exec_lo, s7
	s_cbranch_execz .LBB35_76
; %bb.71:
	s_delay_alu instid0(VALU_DEP_1)
	v_cmp_lt_i32_e64 s2, v54, v47
	s_wait_dscnt 0x0
	v_cmp_nlt_f32_e64 s3, v6, v4
	s_and_b32 s6, s2, s3
	s_mov_b32 s2, -1
	s_and_saveexec_b32 s3, s6
	s_cbranch_execz .LBB35_75
; %bb.72:
	s_mov_b32 s6, 0
	s_mov_b32 s8, exec_lo
	v_cmpx_eq_f32_e32 v6, v4
; %bb.73:
	v_cmp_lt_f32_e64 s2, v7, v5
	s_and_b32 s6, s2, exec_lo
; %bb.74:
	s_or_b32 exec_lo, exec_lo, s8
	s_delay_alu instid0(SALU_CYCLE_1)
	s_or_not1_b32 s2, s6, exec_lo
.LBB35_75:
	s_or_b32 exec_lo, exec_lo, s3
	s_delay_alu instid0(SALU_CYCLE_1)
	s_and_b32 s6, s2, exec_lo
.LBB35_76:
	s_or_b32 exec_lo, exec_lo, s7
	s_xor_b32 s2, s6, -1
                                        ; implicit-def: $vgpr8_vgpr9
	s_delay_alu instid0(SALU_CYCLE_1) | instskip(NEXT) | instid1(SALU_CYCLE_1)
	s_and_saveexec_b32 s3, s2
	s_xor_b32 s2, exec_lo, s3
; %bb.77:
	v_lshl_add_u32 v8, v54, 3, v44
	ds_load_b64 v[8:9], v8 offset:8
; %bb.78:
	s_or_saveexec_b32 s2, s2
	s_wait_dscnt 0x0
	v_mov_b64_e32 v[10:11], v[6:7]
	s_xor_b32 exec_lo, exec_lo, s2
; %bb.79:
	v_lshl_add_u32 v8, v53, 3, v44
	ds_load_b64 v[10:11], v8 offset:8
	v_mov_b64_e32 v[8:9], v[4:5]
; %bb.80:
	s_or_b32 exec_lo, exec_lo, s2
	v_dual_add_nc_u32 v20, 1, v53 :: v_dual_add_nc_u32 v21, 1, v54
	s_mov_b32 s7, 0
	s_mov_b32 s8, exec_lo
	s_delay_alu instid0(VALU_DEP_1) | instskip(NEXT) | instid1(VALU_DEP_2)
	v_cndmask_b32_e64 v55, v53, v20, s6
	v_cndmask_b32_e64 v56, v21, v54, s6
	s_delay_alu instid0(VALU_DEP_2)
	v_cmpx_lt_i32_e64 v55, v49
	s_cbranch_execz .LBB35_86
; %bb.81:
	s_delay_alu instid0(VALU_DEP_2)
	v_cmp_lt_i32_e64 s2, v56, v47
	s_wait_dscnt 0x0
	v_cmp_nlt_f32_e64 s3, v10, v8
	s_and_b32 s7, s2, s3
	s_mov_b32 s2, -1
	s_and_saveexec_b32 s3, s7
	s_cbranch_execz .LBB35_85
; %bb.82:
	s_mov_b32 s7, 0
	s_mov_b32 s9, exec_lo
	v_cmpx_eq_f32_e32 v10, v8
; %bb.83:
	v_cmp_lt_f32_e64 s2, v11, v9
	s_and_b32 s7, s2, exec_lo
; %bb.84:
	s_or_b32 exec_lo, exec_lo, s9
	s_delay_alu instid0(SALU_CYCLE_1)
	s_or_not1_b32 s2, s7, exec_lo
.LBB35_85:
	s_or_b32 exec_lo, exec_lo, s3
	s_delay_alu instid0(SALU_CYCLE_1)
	s_and_b32 s7, s2, exec_lo
.LBB35_86:
	s_or_b32 exec_lo, exec_lo, s8
	s_xor_b32 s2, s7, -1
                                        ; implicit-def: $vgpr20_vgpr21
	s_delay_alu instid0(SALU_CYCLE_1) | instskip(NEXT) | instid1(SALU_CYCLE_1)
	s_and_saveexec_b32 s3, s2
	s_xor_b32 s2, exec_lo, s3
; %bb.87:
	v_lshl_add_u32 v20, v56, 3, v44
	ds_load_b64 v[20:21], v20 offset:8
; %bb.88:
	s_or_saveexec_b32 s2, s2
	s_wait_dscnt 0x0
	v_mov_b64_e32 v[22:23], v[10:11]
	s_xor_b32 exec_lo, exec_lo, s2
; %bb.89:
	v_lshl_add_u32 v20, v55, 3, v44
	ds_load_b64 v[22:23], v20 offset:8
	v_mov_b64_e32 v[20:21], v[8:9]
; %bb.90:
	s_or_b32 exec_lo, exec_lo, s2
	v_add_nc_u32_e32 v24, 1, v55
	s_delay_alu instid0(VALU_DEP_1) | instskip(SKIP_1) | instid1(VALU_DEP_2)
	v_cndmask_b32_e64 v57, v55, v24, s7
	v_add_nc_u32_e32 v24, 1, v56
	v_cmp_ge_i32_e64 s2, v57, v49
	s_and_saveexec_b32 s3, s2
	s_delay_alu instid0(SALU_CYCLE_1) | instskip(NEXT) | instid1(SALU_CYCLE_1)
	s_xor_b32 s2, exec_lo, s3
	s_or_saveexec_b32 s9, s2
	v_cndmask_b32_e64 v58, v24, v56, s7
	s_mov_b32 s8, 0
	s_xor_b32 exec_lo, exec_lo, s9
	s_cbranch_execz .LBB35_96
; %bb.91:
	s_delay_alu instid0(VALU_DEP_1)
	v_cmp_lt_i32_e64 s2, v58, v47
	s_wait_dscnt 0x0
	v_cmp_nlt_f32_e64 s3, v22, v20
	s_and_b32 s8, s2, s3
	s_mov_b32 s2, -1
	s_and_saveexec_b32 s3, s8
	s_cbranch_execz .LBB35_95
; %bb.92:
	s_mov_b32 s8, 0
	s_mov_b32 s10, exec_lo
	v_cmpx_eq_f32_e32 v22, v20
; %bb.93:
	v_cmp_lt_f32_e64 s2, v23, v21
	s_and_b32 s8, s2, exec_lo
; %bb.94:
	s_or_b32 exec_lo, exec_lo, s10
	s_delay_alu instid0(SALU_CYCLE_1)
	s_or_not1_b32 s2, s8, exec_lo
.LBB35_95:
	s_or_b32 exec_lo, exec_lo, s3
	s_delay_alu instid0(SALU_CYCLE_1)
	s_and_b32 s8, s2, exec_lo
.LBB35_96:
	s_or_b32 exec_lo, exec_lo, s9
	s_xor_b32 s2, s8, -1
                                        ; implicit-def: $vgpr24_vgpr25
	s_delay_alu instid0(SALU_CYCLE_1) | instskip(NEXT) | instid1(SALU_CYCLE_1)
	s_and_saveexec_b32 s3, s2
	s_xor_b32 s2, exec_lo, s3
; %bb.97:
	v_lshl_add_u32 v24, v58, 3, v44
	ds_load_b64 v[24:25], v24 offset:8
; %bb.98:
	s_or_saveexec_b32 s2, s2
	s_wait_dscnt 0x0
	v_mov_b64_e32 v[26:27], v[22:23]
	s_xor_b32 exec_lo, exec_lo, s2
; %bb.99:
	v_lshl_add_u32 v24, v57, 3, v44
	ds_load_b64 v[26:27], v24 offset:8
	v_mov_b64_e32 v[24:25], v[20:21]
; %bb.100:
	s_or_b32 exec_lo, exec_lo, s2
	v_dual_add_nc_u32 v28, 1, v57 :: v_dual_add_nc_u32 v29, 1, v58
	s_mov_b32 s9, 0
	s_mov_b32 s10, exec_lo
	s_delay_alu instid0(VALU_DEP_1) | instskip(NEXT) | instid1(VALU_DEP_2)
	v_cndmask_b32_e64 v59, v57, v28, s8
	v_cndmask_b32_e64 v60, v29, v58, s8
	s_delay_alu instid0(VALU_DEP_2)
	v_cmpx_lt_i32_e64 v59, v49
	s_cbranch_execz .LBB35_106
; %bb.101:
	s_delay_alu instid0(VALU_DEP_2)
	v_cmp_lt_i32_e64 s2, v60, v47
	s_wait_dscnt 0x0
	v_cmp_nlt_f32_e64 s3, v26, v24
	s_and_b32 s9, s2, s3
	s_mov_b32 s2, -1
	s_and_saveexec_b32 s3, s9
	s_cbranch_execz .LBB35_105
; %bb.102:
	s_mov_b32 s9, 0
	s_mov_b32 s11, exec_lo
	v_cmpx_eq_f32_e32 v26, v24
; %bb.103:
	v_cmp_lt_f32_e64 s2, v27, v25
	s_and_b32 s9, s2, exec_lo
; %bb.104:
	s_or_b32 exec_lo, exec_lo, s11
	s_delay_alu instid0(SALU_CYCLE_1)
	s_or_not1_b32 s2, s9, exec_lo
.LBB35_105:
	s_or_b32 exec_lo, exec_lo, s3
	s_delay_alu instid0(SALU_CYCLE_1)
	s_and_b32 s9, s2, exec_lo
.LBB35_106:
	s_or_b32 exec_lo, exec_lo, s10
	s_xor_b32 s2, s9, -1
                                        ; implicit-def: $vgpr28_vgpr29
	s_delay_alu instid0(SALU_CYCLE_1) | instskip(NEXT) | instid1(SALU_CYCLE_1)
	s_and_saveexec_b32 s3, s2
	s_xor_b32 s2, exec_lo, s3
; %bb.107:
	v_lshl_add_u32 v28, v60, 3, v44
	ds_load_b64 v[28:29], v28 offset:8
; %bb.108:
	s_or_saveexec_b32 s2, s2
	s_wait_dscnt 0x0
	v_mov_b64_e32 v[32:33], v[26:27]
	s_xor_b32 exec_lo, exec_lo, s2
; %bb.109:
	v_lshl_add_u32 v28, v59, 3, v44
	ds_load_b64 v[32:33], v28 offset:8
	v_mov_b64_e32 v[28:29], v[24:25]
; %bb.110:
	s_or_b32 exec_lo, exec_lo, s2
	v_add_nc_u32_e32 v30, 1, v59
	s_delay_alu instid0(VALU_DEP_1) | instskip(NEXT) | instid1(VALU_DEP_1)
	v_dual_cndmask_b32 v61, v59, v30, s9 :: v_dual_add_nc_u32 v30, 1, v60
	v_cmp_ge_i32_e64 s2, v61, v49
	s_and_saveexec_b32 s3, s2
	s_delay_alu instid0(SALU_CYCLE_1) | instskip(NEXT) | instid1(SALU_CYCLE_1)
	s_xor_b32 s2, exec_lo, s3
	s_or_saveexec_b32 s11, s2
	v_cndmask_b32_e64 v62, v30, v60, s9
	s_mov_b32 s10, 0
	s_xor_b32 exec_lo, exec_lo, s11
	s_cbranch_execz .LBB35_116
; %bb.111:
	s_delay_alu instid0(VALU_DEP_1)
	v_cmp_lt_i32_e64 s2, v62, v47
	s_wait_dscnt 0x0
	v_cmp_nlt_f32_e64 s3, v32, v28
	s_and_b32 s10, s2, s3
	s_mov_b32 s2, -1
	s_and_saveexec_b32 s3, s10
	s_cbranch_execz .LBB35_115
; %bb.112:
	s_mov_b32 s10, 0
	s_mov_b32 s12, exec_lo
	v_cmpx_eq_f32_e32 v32, v28
; %bb.113:
	v_cmp_lt_f32_e64 s2, v33, v29
	s_and_b32 s10, s2, exec_lo
; %bb.114:
	s_or_b32 exec_lo, exec_lo, s12
	s_delay_alu instid0(SALU_CYCLE_1)
	s_or_not1_b32 s2, s10, exec_lo
.LBB35_115:
	s_or_b32 exec_lo, exec_lo, s3
	s_delay_alu instid0(SALU_CYCLE_1)
	s_and_b32 s10, s2, exec_lo
.LBB35_116:
	s_or_b32 exec_lo, exec_lo, s11
	s_xor_b32 s2, s10, -1
                                        ; implicit-def: $vgpr30_vgpr31
	s_delay_alu instid0(SALU_CYCLE_1) | instskip(NEXT) | instid1(SALU_CYCLE_1)
	s_and_saveexec_b32 s3, s2
	s_xor_b32 s2, exec_lo, s3
; %bb.117:
	v_lshl_add_u32 v30, v62, 3, v44
	ds_load_b64 v[30:31], v30 offset:8
; %bb.118:
	s_or_saveexec_b32 s2, s2
	s_wait_dscnt 0x0
	v_mov_b64_e32 v[34:35], v[32:33]
	s_xor_b32 exec_lo, exec_lo, s2
; %bb.119:
	v_lshl_add_u32 v30, v61, 3, v44
	ds_load_b64 v[34:35], v30 offset:8
	v_mov_b64_e32 v[30:31], v[28:29]
; %bb.120:
	s_or_b32 exec_lo, exec_lo, s2
	v_dual_add_nc_u32 v63, 1, v61 :: v_dual_add_nc_u32 v64, 1, v62
	s_mov_b32 s3, 0
	s_mov_b32 s11, exec_lo
	s_delay_alu instid0(VALU_DEP_1) | instskip(NEXT) | instid1(VALU_DEP_1)
	v_dual_cndmask_b32 v63, v61, v63, s10 :: v_dual_cndmask_b32 v64, v64, v62, s10
	v_cmpx_lt_i32_e64 v63, v49
	s_cbranch_execz .LBB35_126
; %bb.121:
	s_delay_alu instid0(VALU_DEP_2)
	v_cmp_lt_i32_e64 s2, v64, v47
	s_wait_dscnt 0x0
	v_cmp_nlt_f32_e64 s3, v34, v30
	s_and_b32 s12, s2, s3
	s_mov_b32 s2, -1
	s_and_saveexec_b32 s3, s12
	s_cbranch_execz .LBB35_125
; %bb.122:
	s_mov_b32 s12, 0
	s_mov_b32 s13, exec_lo
	v_cmpx_eq_f32_e32 v34, v30
; %bb.123:
	v_cmp_lt_f32_e64 s2, v35, v31
	s_and_b32 s12, s2, exec_lo
; %bb.124:
	s_or_b32 exec_lo, exec_lo, s13
	s_delay_alu instid0(SALU_CYCLE_1)
	s_or_not1_b32 s2, s12, exec_lo
.LBB35_125:
	s_or_b32 exec_lo, exec_lo, s3
	s_delay_alu instid0(SALU_CYCLE_1)
	s_and_b32 s3, s2, exec_lo
.LBB35_126:
	s_or_b32 exec_lo, exec_lo, s11
	v_dual_cndmask_b32 v28, v28, v32, s10 :: v_dual_cndmask_b32 v29, v29, v33, s10
	v_dual_cndmask_b32 v24, v24, v26, s9 :: v_dual_cndmask_b32 v23, v21, v23, s8
	;; [unrolled: 1-line block ×7, first 2 shown]
	v_cndmask_b32_e64 v59, v60, v59, s9
	v_dual_cndmask_b32 v22, v20, v22, s8 :: v_dual_cndmask_b32 v27, v9, v11, s7
	v_dual_cndmask_b32 v20, v58, v57, s8 :: v_dual_cndmask_b32 v7, v40, v38, vcc_lo
	v_cndmask_b32_e32 v9, v38, v40, vcc_lo
	v_lshl_add_u32 v47, v45, 2, v44
	v_dual_cndmask_b32 v10, v41, v42, s0 :: v_dual_cndmask_b32 v11, v42, v41, s0
	v_cndmask_b32_e64 v38, v64, v63, s3
	v_lshl_add_u32 v6, v6, 2, v44
	v_cndmask_b32_e64 v17, v39, v43, s1
	v_dual_cndmask_b32 v21, v43, v39, s1 :: v_dual_cndmask_b32 v18, v16, v18, s5
	v_lshl_add_u32 v5, v5, 2, v44
	v_lshl_add_u32 v4, v4, 2, v44
	v_lshl_add_u32 v8, v8, 2, v44
	; wave barrier
	ds_store_2addr_b32 v47, v9, v7 offset0:1 offset1:2
	ds_store_2addr_b32 v47, v11, v10 offset0:3 offset1:4
	;; [unrolled: 1-line block ×3, first 2 shown]
	ds_store_2addr_b32 v47, v36, v37 offset1:7
	v_lshl_add_u32 v9, v20, 2, v44
	; wave barrier
	v_lshl_add_u32 v17, v59, 2, v44
	v_lshl_add_u32 v21, v49, 2, v44
	v_and_b32_e32 v16, 24, v45
	v_lshl_add_u32 v36, v38, 2, v44
	ds_load_b32 v6, v6
	ds_load_b32 v7, v5
	;; [unrolled: 1-line block ×8, first 2 shown]
	v_and_b32_e32 v20, 0xe0, v45
	v_dual_cndmask_b32 v14, v12, v14, s4 :: v_dual_cndmask_b32 v15, v13, v15, s4
	s_wait_dscnt 0xc
	v_cndmask_b32_e64 v31, v31, v35, s3
	v_sub_nc_u32_e64 v21, v16, 16 clamp
	v_or_b32_e32 v48, 16, v20
	s_mov_b32 s0, exec_lo
	; wave barrier
	ds_store_2addr_b64 v46, v[14:15], v[18:19] offset1:1
	ds_store_2addr_b64 v46, v[32:33], v[26:27] offset0:2 offset1:3
	v_dual_sub_nc_u32 v12, v48, v20 :: v_dual_cndmask_b32 v30, v30, v34, s3
	s_delay_alu instid0(VALU_DEP_1)
	v_min_i32_e32 v13, v16, v12
	v_lshl_add_u32 v12, v20, 3, v44
	ds_store_2addr_b64 v46, v[22:23], v[24:25] offset0:4 offset1:5
	ds_store_2addr_b64 v46, v[28:29], v[30:31] offset0:6 offset1:7
	; wave barrier
	v_cmpx_lt_i32_e64 v21, v13
	s_cbranch_execz .LBB35_134
; %bb.127:
	v_lshl_add_u32 v14, v16, 3, v12
	s_mov_b32 s1, 0
                                        ; implicit-def: $sgpr2
	s_branch .LBB35_130
.LBB35_128:                             ;   in Loop: Header=BB35_130 Depth=1
	s_or_b32 exec_lo, exec_lo, s5
	s_delay_alu instid0(SALU_CYCLE_1) | instskip(SKIP_1) | instid1(SALU_CYCLE_1)
	s_and_not1_b32 s2, s2, exec_lo
	s_and_b32 s4, s4, exec_lo
	s_or_b32 s2, s2, s4
.LBB35_129:                             ;   in Loop: Header=BB35_130 Depth=1
	s_or_b32 exec_lo, exec_lo, s3
	v_dual_add_nc_u32 v17, 1, v15 :: v_dual_cndmask_b32 v13, v13, v15, s2
	s_delay_alu instid0(VALU_DEP_1) | instskip(NEXT) | instid1(VALU_DEP_1)
	v_cndmask_b32_e64 v21, v17, v21, s2
	v_cmp_ge_i32_e32 vcc_lo, v21, v13
	s_or_b32 s1, vcc_lo, s1
	s_delay_alu instid0(SALU_CYCLE_1)
	s_and_not1_b32 exec_lo, exec_lo, s1
	s_cbranch_execz .LBB35_133
.LBB35_130:                             ; =>This Inner Loop Header: Depth=1
	v_sub_nc_u32_e32 v15, v13, v21
	s_or_b32 s2, s2, exec_lo
	s_mov_b32 s3, exec_lo
	s_delay_alu instid0(VALU_DEP_1) | instskip(NEXT) | instid1(VALU_DEP_1)
	v_lshrrev_b32_e32 v15, 1, v15
	v_add_nc_u32_e32 v15, v15, v21
	s_delay_alu instid0(VALU_DEP_1) | instskip(SKIP_1) | instid1(VALU_DEP_2)
	v_not_b32_e32 v18, v15
	v_lshl_add_u32 v17, v15, 3, v12
	v_lshl_add_u32 v18, v18, 3, v14
	ds_load_b32 v19, v17
	ds_load_b32 v22, v18 offset:128
	s_wait_dscnt 0x0
	v_cmpx_nlt_f32_e32 v22, v19
	s_cbranch_execz .LBB35_129
; %bb.131:                              ;   in Loop: Header=BB35_130 Depth=1
	s_mov_b32 s4, 0
	s_mov_b32 s5, exec_lo
	v_cmpx_eq_f32_e32 v22, v19
	s_cbranch_execz .LBB35_128
; %bb.132:                              ;   in Loop: Header=BB35_130 Depth=1
	ds_load_b32 v18, v18 offset:132
	ds_load_b32 v17, v17 offset:4
	s_wait_dscnt 0x0
	v_cmp_lt_f32_e32 vcc_lo, v18, v17
	s_and_b32 s4, vcc_lo, exec_lo
	s_branch .LBB35_128
.LBB35_133:
	s_or_b32 exec_lo, exec_lo, s1
.LBB35_134:
	s_delay_alu instid0(SALU_CYCLE_1) | instskip(SKIP_4) | instid1(VALU_DEP_3)
	s_or_b32 exec_lo, exec_lo, s0
	v_add_nc_u32_e32 v13, v20, v16
	v_lshl_add_u32 v18, v21, 3, v12
	s_mov_b32 s0, exec_lo
	v_add_nc_u32_e32 v16, v48, v16
	v_dual_add_nc_u32 v50, 32, v20 :: v_dual_sub_nc_u32 v13, v13, v21
	s_delay_alu instid0(VALU_DEP_2) | instskip(NEXT) | instid1(VALU_DEP_2)
	v_sub_nc_u32_e32 v49, v16, v21
	v_lshl_add_u32 v22, v13, 3, v44
	ds_load_b64 v[12:13], v18
	ds_load_b64 v[14:15], v22 offset:128
	v_cmpx_le_i32_e64 v50, v49
	s_xor_b32 s0, exec_lo, s0
	s_delay_alu instid0(SALU_CYCLE_1)
	s_or_saveexec_b32 s2, s0
	s_mov_b32 s1, 0
	s_xor_b32 exec_lo, exec_lo, s2
	s_cbranch_execz .LBB35_140
; %bb.135:
	v_cmp_gt_i32_e32 vcc_lo, 16, v21
	s_wait_dscnt 0x0
	v_cmp_nlt_f32_e64 s0, v14, v12
	s_mov_b32 s1, -1
	s_and_b32 s3, vcc_lo, s0
	s_delay_alu instid0(SALU_CYCLE_1)
	s_and_saveexec_b32 s0, s3
	s_cbranch_execz .LBB35_139
; %bb.136:
	s_mov_b32 s1, 0
	s_mov_b32 s3, exec_lo
	v_cmpx_eq_f32_e32 v14, v12
; %bb.137:
	v_cmp_lt_f32_e32 vcc_lo, v15, v13
	s_and_b32 s1, vcc_lo, exec_lo
; %bb.138:
	s_or_b32 exec_lo, exec_lo, s3
	s_delay_alu instid0(SALU_CYCLE_1)
	s_or_not1_b32 s1, s1, exec_lo
.LBB35_139:
	s_or_b32 exec_lo, exec_lo, s0
	s_delay_alu instid0(SALU_CYCLE_1)
	s_and_b32 s1, s1, exec_lo
.LBB35_140:
	s_or_b32 exec_lo, exec_lo, s2
	s_xor_b32 s0, s1, -1
                                        ; implicit-def: $vgpr16_vgpr17
	s_delay_alu instid0(SALU_CYCLE_1) | instskip(NEXT) | instid1(SALU_CYCLE_1)
	s_and_saveexec_b32 s2, s0
	s_xor_b32 s0, exec_lo, s2
; %bb.141:
	ds_load_b64 v[16:17], v18 offset:8
                                        ; implicit-def: $vgpr22
; %bb.142:
	s_or_saveexec_b32 s0, s0
	s_wait_dscnt 0x0
	v_mov_b64_e32 v[18:19], v[14:15]
	s_xor_b32 exec_lo, exec_lo, s0
; %bb.143:
	ds_load_b64 v[18:19], v22 offset:136
	v_mov_b64_e32 v[16:17], v[12:13]
; %bb.144:
	s_or_b32 exec_lo, exec_lo, s0
	v_dual_add_nc_u32 v51, v21, v20 :: v_dual_add_nc_u32 v20, 1, v49
	s_mov_b32 s2, 0
	s_mov_b32 s3, exec_lo
	s_delay_alu instid0(VALU_DEP_1) | instskip(NEXT) | instid1(VALU_DEP_1)
	v_dual_add_nc_u32 v21, 1, v51 :: v_dual_cndmask_b32 v52, v49, v20, s1
	v_cndmask_b32_e64 v53, v21, v51, s1
	s_delay_alu instid0(VALU_DEP_2)
	v_cmpx_lt_i32_e64 v52, v50
	s_cbranch_execz .LBB35_150
; %bb.145:
	s_delay_alu instid0(VALU_DEP_2) | instskip(SKIP_4) | instid1(SALU_CYCLE_1)
	v_cmp_lt_i32_e32 vcc_lo, v53, v48
	s_wait_dscnt 0x0
	v_cmp_nlt_f32_e64 s0, v18, v16
	s_mov_b32 s2, -1
	s_and_b32 s4, vcc_lo, s0
	s_and_saveexec_b32 s0, s4
	s_cbranch_execz .LBB35_149
; %bb.146:
	s_mov_b32 s2, 0
	s_mov_b32 s4, exec_lo
	v_cmpx_eq_f32_e32 v18, v16
; %bb.147:
	v_cmp_lt_f32_e32 vcc_lo, v19, v17
	s_and_b32 s2, vcc_lo, exec_lo
; %bb.148:
	s_or_b32 exec_lo, exec_lo, s4
	s_delay_alu instid0(SALU_CYCLE_1)
	s_or_not1_b32 s2, s2, exec_lo
.LBB35_149:
	s_or_b32 exec_lo, exec_lo, s0
	s_delay_alu instid0(SALU_CYCLE_1)
	s_and_b32 s2, s2, exec_lo
.LBB35_150:
	s_or_b32 exec_lo, exec_lo, s3
	s_xor_b32 s0, s2, -1
                                        ; implicit-def: $vgpr20_vgpr21
	s_delay_alu instid0(SALU_CYCLE_1) | instskip(NEXT) | instid1(SALU_CYCLE_1)
	s_and_saveexec_b32 s3, s0
	s_xor_b32 s0, exec_lo, s3
; %bb.151:
	v_lshl_add_u32 v20, v53, 3, v44
	ds_load_b64 v[20:21], v20 offset:8
; %bb.152:
	s_or_saveexec_b32 s0, s0
	s_wait_dscnt 0x0
	v_mov_b64_e32 v[22:23], v[18:19]
	s_xor_b32 exec_lo, exec_lo, s0
; %bb.153:
	v_lshl_add_u32 v20, v52, 3, v44
	ds_load_b64 v[22:23], v20 offset:8
	v_mov_b64_e32 v[20:21], v[16:17]
; %bb.154:
	s_or_b32 exec_lo, exec_lo, s0
	v_add_nc_u32_e32 v24, 1, v52
	s_mov_b32 s0, exec_lo
	s_delay_alu instid0(VALU_DEP_1) | instskip(NEXT) | instid1(VALU_DEP_1)
	v_dual_cndmask_b32 v54, v52, v24, s2 :: v_dual_add_nc_u32 v24, 1, v53
	v_cmpx_ge_i32_e64 v54, v50
	s_xor_b32 s0, exec_lo, s0
	s_delay_alu instid0(SALU_CYCLE_1) | instskip(NEXT) | instid1(VALU_DEP_2)
	s_or_saveexec_b32 s4, s0
	v_cndmask_b32_e64 v55, v24, v53, s2
	s_mov_b32 s3, 0
	s_xor_b32 exec_lo, exec_lo, s4
	s_cbranch_execz .LBB35_160
; %bb.155:
	s_delay_alu instid0(VALU_DEP_1) | instskip(SKIP_4) | instid1(SALU_CYCLE_1)
	v_cmp_lt_i32_e32 vcc_lo, v55, v48
	s_wait_dscnt 0x0
	v_cmp_nlt_f32_e64 s0, v22, v20
	s_mov_b32 s3, -1
	s_and_b32 s5, vcc_lo, s0
	s_and_saveexec_b32 s0, s5
	s_cbranch_execz .LBB35_159
; %bb.156:
	s_mov_b32 s3, 0
	s_mov_b32 s5, exec_lo
	v_cmpx_eq_f32_e32 v22, v20
; %bb.157:
	v_cmp_lt_f32_e32 vcc_lo, v23, v21
	s_and_b32 s3, vcc_lo, exec_lo
; %bb.158:
	s_or_b32 exec_lo, exec_lo, s5
	s_delay_alu instid0(SALU_CYCLE_1)
	s_or_not1_b32 s3, s3, exec_lo
.LBB35_159:
	s_or_b32 exec_lo, exec_lo, s0
	s_delay_alu instid0(SALU_CYCLE_1)
	s_and_b32 s3, s3, exec_lo
.LBB35_160:
	s_or_b32 exec_lo, exec_lo, s4
	s_xor_b32 s0, s3, -1
                                        ; implicit-def: $vgpr24_vgpr25
	s_delay_alu instid0(SALU_CYCLE_1) | instskip(NEXT) | instid1(SALU_CYCLE_1)
	s_and_saveexec_b32 s4, s0
	s_xor_b32 s0, exec_lo, s4
; %bb.161:
	v_lshl_add_u32 v24, v55, 3, v44
	ds_load_b64 v[24:25], v24 offset:8
; %bb.162:
	s_or_saveexec_b32 s0, s0
	s_wait_dscnt 0x0
	v_mov_b64_e32 v[26:27], v[22:23]
	s_xor_b32 exec_lo, exec_lo, s0
; %bb.163:
	v_lshl_add_u32 v24, v54, 3, v44
	ds_load_b64 v[26:27], v24 offset:8
	v_mov_b64_e32 v[24:25], v[20:21]
; %bb.164:
	s_or_b32 exec_lo, exec_lo, s0
	v_dual_add_nc_u32 v28, 1, v54 :: v_dual_add_nc_u32 v29, 1, v55
	s_mov_b32 s4, 0
	s_mov_b32 s5, exec_lo
	s_delay_alu instid0(VALU_DEP_1) | instskip(NEXT) | instid1(VALU_DEP_1)
	v_dual_cndmask_b32 v56, v54, v28, s3 :: v_dual_cndmask_b32 v57, v29, v55, s3
	v_cmpx_lt_i32_e64 v56, v50
	s_cbranch_execz .LBB35_170
; %bb.165:
	s_delay_alu instid0(VALU_DEP_2) | instskip(SKIP_4) | instid1(SALU_CYCLE_1)
	v_cmp_lt_i32_e32 vcc_lo, v57, v48
	s_wait_dscnt 0x0
	v_cmp_nlt_f32_e64 s0, v26, v24
	s_mov_b32 s4, -1
	s_and_b32 s6, vcc_lo, s0
	s_and_saveexec_b32 s0, s6
	s_cbranch_execz .LBB35_169
; %bb.166:
	s_mov_b32 s4, 0
	s_mov_b32 s6, exec_lo
	v_cmpx_eq_f32_e32 v26, v24
; %bb.167:
	v_cmp_lt_f32_e32 vcc_lo, v27, v25
	s_and_b32 s4, vcc_lo, exec_lo
; %bb.168:
	s_or_b32 exec_lo, exec_lo, s6
	s_delay_alu instid0(SALU_CYCLE_1)
	s_or_not1_b32 s4, s4, exec_lo
.LBB35_169:
	s_or_b32 exec_lo, exec_lo, s0
	s_delay_alu instid0(SALU_CYCLE_1)
	s_and_b32 s4, s4, exec_lo
.LBB35_170:
	s_or_b32 exec_lo, exec_lo, s5
	s_xor_b32 s0, s4, -1
                                        ; implicit-def: $vgpr28_vgpr29
	s_delay_alu instid0(SALU_CYCLE_1) | instskip(NEXT) | instid1(SALU_CYCLE_1)
	s_and_saveexec_b32 s5, s0
	s_xor_b32 s0, exec_lo, s5
; %bb.171:
	v_lshl_add_u32 v28, v57, 3, v44
	ds_load_b64 v[28:29], v28 offset:8
; %bb.172:
	s_or_saveexec_b32 s0, s0
	s_wait_dscnt 0x0
	v_mov_b64_e32 v[30:31], v[26:27]
	s_xor_b32 exec_lo, exec_lo, s0
; %bb.173:
	v_lshl_add_u32 v28, v56, 3, v44
	ds_load_b64 v[30:31], v28 offset:8
	v_mov_b64_e32 v[28:29], v[24:25]
; %bb.174:
	s_or_b32 exec_lo, exec_lo, s0
	v_add_nc_u32_e32 v32, 1, v56
	s_mov_b32 s0, exec_lo
	s_delay_alu instid0(VALU_DEP_1) | instskip(NEXT) | instid1(VALU_DEP_1)
	v_dual_cndmask_b32 v58, v56, v32, s4 :: v_dual_add_nc_u32 v32, 1, v57
	v_cmpx_ge_i32_e64 v58, v50
	s_xor_b32 s0, exec_lo, s0
	s_delay_alu instid0(SALU_CYCLE_1) | instskip(NEXT) | instid1(VALU_DEP_2)
	s_or_saveexec_b32 s6, s0
	v_cndmask_b32_e64 v59, v32, v57, s4
	s_mov_b32 s5, 0
	s_xor_b32 exec_lo, exec_lo, s6
	s_cbranch_execz .LBB35_180
; %bb.175:
	s_delay_alu instid0(VALU_DEP_1) | instskip(SKIP_4) | instid1(SALU_CYCLE_1)
	v_cmp_lt_i32_e32 vcc_lo, v59, v48
	s_wait_dscnt 0x0
	v_cmp_nlt_f32_e64 s0, v30, v28
	s_mov_b32 s5, -1
	s_and_b32 s7, vcc_lo, s0
	s_and_saveexec_b32 s0, s7
	s_cbranch_execz .LBB35_179
; %bb.176:
	s_mov_b32 s5, 0
	s_mov_b32 s7, exec_lo
	v_cmpx_eq_f32_e32 v30, v28
; %bb.177:
	v_cmp_lt_f32_e32 vcc_lo, v31, v29
	s_and_b32 s5, vcc_lo, exec_lo
; %bb.178:
	s_or_b32 exec_lo, exec_lo, s7
	s_delay_alu instid0(SALU_CYCLE_1)
	s_or_not1_b32 s5, s5, exec_lo
.LBB35_179:
	s_or_b32 exec_lo, exec_lo, s0
	s_delay_alu instid0(SALU_CYCLE_1)
	s_and_b32 s5, s5, exec_lo
.LBB35_180:
	s_or_b32 exec_lo, exec_lo, s6
	s_xor_b32 s0, s5, -1
                                        ; implicit-def: $vgpr32_vgpr33
	s_delay_alu instid0(SALU_CYCLE_1) | instskip(NEXT) | instid1(SALU_CYCLE_1)
	s_and_saveexec_b32 s6, s0
	s_xor_b32 s0, exec_lo, s6
; %bb.181:
	v_lshl_add_u32 v32, v59, 3, v44
	ds_load_b64 v[32:33], v32 offset:8
; %bb.182:
	s_or_saveexec_b32 s0, s0
	s_wait_dscnt 0x0
	v_mov_b64_e32 v[34:35], v[30:31]
	s_xor_b32 exec_lo, exec_lo, s0
; %bb.183:
	v_lshl_add_u32 v32, v58, 3, v44
	ds_load_b64 v[34:35], v32 offset:8
	v_mov_b64_e32 v[32:33], v[28:29]
; %bb.184:
	s_or_b32 exec_lo, exec_lo, s0
	v_dual_add_nc_u32 v36, 1, v58 :: v_dual_add_nc_u32 v37, 1, v59
	s_mov_b32 s6, 0
	s_mov_b32 s7, exec_lo
	s_delay_alu instid0(VALU_DEP_1) | instskip(NEXT) | instid1(VALU_DEP_1)
	v_dual_cndmask_b32 v60, v58, v36, s5 :: v_dual_cndmask_b32 v61, v37, v59, s5
	v_cmpx_lt_i32_e64 v60, v50
	s_cbranch_execz .LBB35_190
; %bb.185:
	s_delay_alu instid0(VALU_DEP_2) | instskip(SKIP_4) | instid1(SALU_CYCLE_1)
	v_cmp_lt_i32_e32 vcc_lo, v61, v48
	s_wait_dscnt 0x0
	v_cmp_nlt_f32_e64 s0, v34, v32
	s_mov_b32 s6, -1
	s_and_b32 s8, vcc_lo, s0
	s_and_saveexec_b32 s0, s8
	s_cbranch_execz .LBB35_189
; %bb.186:
	s_mov_b32 s6, 0
	s_mov_b32 s8, exec_lo
	v_cmpx_eq_f32_e32 v34, v32
; %bb.187:
	v_cmp_lt_f32_e32 vcc_lo, v35, v33
	s_and_b32 s6, vcc_lo, exec_lo
; %bb.188:
	s_or_b32 exec_lo, exec_lo, s8
	s_delay_alu instid0(SALU_CYCLE_1)
	s_or_not1_b32 s6, s6, exec_lo
.LBB35_189:
	s_or_b32 exec_lo, exec_lo, s0
	s_delay_alu instid0(SALU_CYCLE_1)
	s_and_b32 s6, s6, exec_lo
.LBB35_190:
	s_or_b32 exec_lo, exec_lo, s7
	s_xor_b32 s0, s6, -1
                                        ; implicit-def: $vgpr36_vgpr37
	s_delay_alu instid0(SALU_CYCLE_1) | instskip(NEXT) | instid1(SALU_CYCLE_1)
	s_and_saveexec_b32 s7, s0
	s_xor_b32 s0, exec_lo, s7
; %bb.191:
	v_lshl_add_u32 v36, v61, 3, v44
	ds_load_b64 v[36:37], v36 offset:8
; %bb.192:
	s_or_saveexec_b32 s0, s0
	s_wait_dscnt 0x0
	v_mov_b64_e32 v[40:41], v[34:35]
	s_xor_b32 exec_lo, exec_lo, s0
; %bb.193:
	v_lshl_add_u32 v36, v60, 3, v44
	ds_load_b64 v[40:41], v36 offset:8
	v_mov_b64_e32 v[36:37], v[32:33]
; %bb.194:
	s_or_b32 exec_lo, exec_lo, s0
	v_add_nc_u32_e32 v38, 1, v60
	s_mov_b32 s0, exec_lo
	s_delay_alu instid0(VALU_DEP_1) | instskip(NEXT) | instid1(VALU_DEP_1)
	v_dual_cndmask_b32 v62, v60, v38, s6 :: v_dual_add_nc_u32 v38, 1, v61
	v_cmpx_ge_i32_e64 v62, v50
	s_xor_b32 s0, exec_lo, s0
	s_delay_alu instid0(SALU_CYCLE_1) | instskip(NEXT) | instid1(VALU_DEP_2)
	s_or_saveexec_b32 s8, s0
	v_cndmask_b32_e64 v63, v38, v61, s6
	s_mov_b32 s7, 0
	s_xor_b32 exec_lo, exec_lo, s8
	s_cbranch_execz .LBB35_200
; %bb.195:
	s_delay_alu instid0(VALU_DEP_1) | instskip(SKIP_4) | instid1(SALU_CYCLE_1)
	v_cmp_lt_i32_e32 vcc_lo, v63, v48
	s_wait_dscnt 0x0
	v_cmp_nlt_f32_e64 s0, v40, v36
	s_mov_b32 s7, -1
	s_and_b32 s9, vcc_lo, s0
	s_and_saveexec_b32 s0, s9
	s_cbranch_execz .LBB35_199
; %bb.196:
	s_mov_b32 s7, 0
	s_mov_b32 s9, exec_lo
	v_cmpx_eq_f32_e32 v40, v36
; %bb.197:
	v_cmp_lt_f32_e32 vcc_lo, v41, v37
	s_and_b32 s7, vcc_lo, exec_lo
; %bb.198:
	s_or_b32 exec_lo, exec_lo, s9
	s_delay_alu instid0(SALU_CYCLE_1)
	s_or_not1_b32 s7, s7, exec_lo
.LBB35_199:
	s_or_b32 exec_lo, exec_lo, s0
	s_delay_alu instid0(SALU_CYCLE_1)
	s_and_b32 s7, s7, exec_lo
.LBB35_200:
	s_or_b32 exec_lo, exec_lo, s8
	s_xor_b32 s0, s7, -1
                                        ; implicit-def: $vgpr38_vgpr39
	s_delay_alu instid0(SALU_CYCLE_1) | instskip(NEXT) | instid1(SALU_CYCLE_1)
	s_and_saveexec_b32 s8, s0
	s_xor_b32 s0, exec_lo, s8
; %bb.201:
	v_lshl_add_u32 v38, v63, 3, v44
	ds_load_b64 v[38:39], v38 offset:8
; %bb.202:
	s_or_saveexec_b32 s0, s0
	s_wait_dscnt 0x0
	v_mov_b64_e32 v[42:43], v[40:41]
	s_xor_b32 exec_lo, exec_lo, s0
; %bb.203:
	v_lshl_add_u32 v38, v62, 3, v44
	ds_load_b64 v[42:43], v38 offset:8
	v_mov_b64_e32 v[38:39], v[36:37]
; %bb.204:
	s_or_b32 exec_lo, exec_lo, s0
	v_dual_add_nc_u32 v64, 1, v62 :: v_dual_add_nc_u32 v65, 1, v63
	s_mov_b32 s0, 0
	s_mov_b32 s8, exec_lo
	s_delay_alu instid0(VALU_DEP_1) | instskip(NEXT) | instid1(VALU_DEP_1)
	v_dual_cndmask_b32 v64, v62, v64, s7 :: v_dual_cndmask_b32 v65, v65, v63, s7
	v_cmpx_lt_i32_e64 v64, v50
	s_cbranch_execz .LBB35_210
; %bb.205:
	s_delay_alu instid0(VALU_DEP_2) | instskip(SKIP_4) | instid1(SALU_CYCLE_1)
	v_cmp_lt_i32_e32 vcc_lo, v65, v48
	s_wait_dscnt 0x0
	v_cmp_nlt_f32_e64 s0, v42, v38
	s_mov_b32 s9, -1
	s_and_b32 s10, vcc_lo, s0
	s_and_saveexec_b32 s0, s10
	s_cbranch_execz .LBB35_209
; %bb.206:
	s_mov_b32 s9, 0
	s_mov_b32 s10, exec_lo
	v_cmpx_eq_f32_e32 v42, v38
; %bb.207:
	v_cmp_lt_f32_e32 vcc_lo, v43, v39
	s_and_b32 s9, vcc_lo, exec_lo
; %bb.208:
	s_or_b32 exec_lo, exec_lo, s10
	s_delay_alu instid0(SALU_CYCLE_1)
	s_or_not1_b32 s9, s9, exec_lo
.LBB35_209:
	s_or_b32 exec_lo, exec_lo, s0
	s_delay_alu instid0(SALU_CYCLE_1)
	s_and_b32 s0, s9, exec_lo
.LBB35_210:
	s_or_b32 exec_lo, exec_lo, s8
	v_dual_cndmask_b32 v22, v20, v22, s3 :: v_dual_cndmask_b32 v23, v21, v23, s3
	v_dual_cndmask_b32 v20, v55, v54, s3 :: v_dual_cndmask_b32 v19, v17, v19, s2
	;; [unrolled: 1-line block ×10, first 2 shown]
	; wave barrier
	ds_store_2addr_b64 v47, v[6:7], v[10:11] offset1:1
	ds_store_2addr_b64 v47, v[4:5], v[8:9] offset0:2 offset1:3
	v_lshl_add_u32 v4, v21, 2, v44
	v_lshl_add_u32 v5, v17, 2, v44
	;; [unrolled: 1-line block ×5, first 2 shown]
	; wave barrier
	v_lshl_add_u32 v21, v34, 2, v44
	v_lshl_add_u32 v26, v40, 2, v44
	;; [unrolled: 1-line block ×3, first 2 shown]
	ds_load_b32 v6, v4
	ds_load_b32 v7, v5
	;; [unrolled: 1-line block ×8, first 2 shown]
	v_and_b32_e32 v20, 0xc0, v45
	v_dual_cndmask_b32 v14, v12, v14, s1 :: v_dual_cndmask_b32 v15, v13, v15, s1
	s_wait_dscnt 0xa
	v_dual_cndmask_b32 v27, v39, v43, s0 :: v_dual_bitop2_b32 v16, 56, v45 bitop3:0x40
	s_delay_alu instid0(VALU_DEP_3) | instskip(NEXT) | instid1(VALU_DEP_2)
	v_or_b32_e32 v48, 32, v20
	; wave barrier
	v_sub_nc_u32_e64 v21, v16, 32 clamp
	ds_store_2addr_b64 v46, v[14:15], v[18:19] offset1:1
	ds_store_2addr_b64 v46, v[22:23], v[24:25] offset0:2 offset1:3
	v_dual_sub_nc_u32 v12, v48, v20 :: v_dual_cndmask_b32 v26, v38, v42, s0
	s_mov_b32 s0, exec_lo
	s_delay_alu instid0(VALU_DEP_1)
	v_min_i32_e32 v13, v16, v12
	v_lshl_add_u32 v12, v20, 3, v44
	ds_store_2addr_b64 v46, v[28:29], v[32:33] offset0:4 offset1:5
	ds_store_2addr_b64 v46, v[36:37], v[26:27] offset0:6 offset1:7
	; wave barrier
	v_cmpx_lt_i32_e64 v21, v13
	s_cbranch_execz .LBB35_218
; %bb.211:
	v_lshl_add_u32 v14, v16, 3, v12
	s_mov_b32 s1, 0
                                        ; implicit-def: $sgpr2
	s_branch .LBB35_214
.LBB35_212:                             ;   in Loop: Header=BB35_214 Depth=1
	s_or_b32 exec_lo, exec_lo, s5
	s_delay_alu instid0(SALU_CYCLE_1) | instskip(SKIP_1) | instid1(SALU_CYCLE_1)
	s_and_not1_b32 s2, s2, exec_lo
	s_and_b32 s4, s4, exec_lo
	s_or_b32 s2, s2, s4
.LBB35_213:                             ;   in Loop: Header=BB35_214 Depth=1
	s_or_b32 exec_lo, exec_lo, s3
	v_dual_add_nc_u32 v17, 1, v15 :: v_dual_cndmask_b32 v13, v13, v15, s2
	s_delay_alu instid0(VALU_DEP_1) | instskip(NEXT) | instid1(VALU_DEP_1)
	v_cndmask_b32_e64 v21, v17, v21, s2
	v_cmp_ge_i32_e32 vcc_lo, v21, v13
	s_or_b32 s1, vcc_lo, s1
	s_delay_alu instid0(SALU_CYCLE_1)
	s_and_not1_b32 exec_lo, exec_lo, s1
	s_cbranch_execz .LBB35_217
.LBB35_214:                             ; =>This Inner Loop Header: Depth=1
	v_sub_nc_u32_e32 v15, v13, v21
	s_or_b32 s2, s2, exec_lo
	s_mov_b32 s3, exec_lo
	s_delay_alu instid0(VALU_DEP_1) | instskip(NEXT) | instid1(VALU_DEP_1)
	v_lshrrev_b32_e32 v15, 1, v15
	v_add_nc_u32_e32 v15, v15, v21
	s_delay_alu instid0(VALU_DEP_1) | instskip(SKIP_1) | instid1(VALU_DEP_2)
	v_not_b32_e32 v18, v15
	v_lshl_add_u32 v17, v15, 3, v12
	v_lshl_add_u32 v18, v18, 3, v14
	ds_load_b32 v19, v17
	ds_load_b32 v22, v18 offset:256
	s_wait_dscnt 0x0
	v_cmpx_nlt_f32_e32 v22, v19
	s_cbranch_execz .LBB35_213
; %bb.215:                              ;   in Loop: Header=BB35_214 Depth=1
	s_mov_b32 s4, 0
	s_mov_b32 s5, exec_lo
	v_cmpx_eq_f32_e32 v22, v19
	s_cbranch_execz .LBB35_212
; %bb.216:                              ;   in Loop: Header=BB35_214 Depth=1
	ds_load_b32 v18, v18 offset:260
	ds_load_b32 v17, v17 offset:4
	s_wait_dscnt 0x0
	v_cmp_lt_f32_e32 vcc_lo, v18, v17
	s_and_b32 s4, vcc_lo, exec_lo
	s_branch .LBB35_212
.LBB35_217:
	s_or_b32 exec_lo, exec_lo, s1
.LBB35_218:
	s_delay_alu instid0(SALU_CYCLE_1) | instskip(SKIP_4) | instid1(VALU_DEP_3)
	s_or_b32 exec_lo, exec_lo, s0
	v_add_nc_u32_e32 v13, v20, v16
	v_lshl_add_u32 v18, v21, 3, v12
	s_mov_b32 s0, exec_lo
	v_add_nc_u32_e32 v16, v48, v16
	v_dual_add_nc_u32 v50, 64, v20 :: v_dual_sub_nc_u32 v13, v13, v21
	s_delay_alu instid0(VALU_DEP_2) | instskip(NEXT) | instid1(VALU_DEP_2)
	v_sub_nc_u32_e32 v49, v16, v21
	v_lshl_add_u32 v22, v13, 3, v44
	ds_load_b64 v[12:13], v18
	ds_load_b64 v[14:15], v22 offset:256
	v_cmpx_le_i32_e64 v50, v49
	s_xor_b32 s0, exec_lo, s0
	s_delay_alu instid0(SALU_CYCLE_1)
	s_or_saveexec_b32 s2, s0
	s_mov_b32 s1, 0
	s_xor_b32 exec_lo, exec_lo, s2
	s_cbranch_execz .LBB35_224
; %bb.219:
	v_cmp_gt_i32_e32 vcc_lo, 32, v21
	s_wait_dscnt 0x0
	v_cmp_nlt_f32_e64 s0, v14, v12
	s_mov_b32 s1, -1
	s_and_b32 s3, vcc_lo, s0
	s_delay_alu instid0(SALU_CYCLE_1)
	s_and_saveexec_b32 s0, s3
	s_cbranch_execz .LBB35_223
; %bb.220:
	s_mov_b32 s1, 0
	s_mov_b32 s3, exec_lo
	v_cmpx_eq_f32_e32 v14, v12
; %bb.221:
	v_cmp_lt_f32_e32 vcc_lo, v15, v13
	s_and_b32 s1, vcc_lo, exec_lo
; %bb.222:
	s_or_b32 exec_lo, exec_lo, s3
	s_delay_alu instid0(SALU_CYCLE_1)
	s_or_not1_b32 s1, s1, exec_lo
.LBB35_223:
	s_or_b32 exec_lo, exec_lo, s0
	s_delay_alu instid0(SALU_CYCLE_1)
	s_and_b32 s1, s1, exec_lo
.LBB35_224:
	s_or_b32 exec_lo, exec_lo, s2
	s_xor_b32 s0, s1, -1
                                        ; implicit-def: $vgpr16_vgpr17
	s_delay_alu instid0(SALU_CYCLE_1) | instskip(NEXT) | instid1(SALU_CYCLE_1)
	s_and_saveexec_b32 s2, s0
	s_xor_b32 s0, exec_lo, s2
; %bb.225:
	ds_load_b64 v[16:17], v18 offset:8
                                        ; implicit-def: $vgpr22
; %bb.226:
	s_or_saveexec_b32 s0, s0
	s_wait_dscnt 0x0
	v_mov_b64_e32 v[18:19], v[14:15]
	s_xor_b32 exec_lo, exec_lo, s0
; %bb.227:
	ds_load_b64 v[18:19], v22 offset:264
	v_mov_b64_e32 v[16:17], v[12:13]
; %bb.228:
	s_or_b32 exec_lo, exec_lo, s0
	v_dual_add_nc_u32 v51, v21, v20 :: v_dual_add_nc_u32 v20, 1, v49
	s_mov_b32 s2, 0
	s_mov_b32 s3, exec_lo
	s_delay_alu instid0(VALU_DEP_1) | instskip(NEXT) | instid1(VALU_DEP_1)
	v_dual_add_nc_u32 v21, 1, v51 :: v_dual_cndmask_b32 v52, v49, v20, s1
	v_cndmask_b32_e64 v53, v21, v51, s1
	s_delay_alu instid0(VALU_DEP_2)
	v_cmpx_lt_i32_e64 v52, v50
	s_cbranch_execz .LBB35_234
; %bb.229:
	s_delay_alu instid0(VALU_DEP_2) | instskip(SKIP_4) | instid1(SALU_CYCLE_1)
	v_cmp_lt_i32_e32 vcc_lo, v53, v48
	s_wait_dscnt 0x0
	v_cmp_nlt_f32_e64 s0, v18, v16
	s_mov_b32 s2, -1
	s_and_b32 s4, vcc_lo, s0
	s_and_saveexec_b32 s0, s4
	s_cbranch_execz .LBB35_233
; %bb.230:
	s_mov_b32 s2, 0
	s_mov_b32 s4, exec_lo
	v_cmpx_eq_f32_e32 v18, v16
; %bb.231:
	v_cmp_lt_f32_e32 vcc_lo, v19, v17
	s_and_b32 s2, vcc_lo, exec_lo
; %bb.232:
	s_or_b32 exec_lo, exec_lo, s4
	s_delay_alu instid0(SALU_CYCLE_1)
	s_or_not1_b32 s2, s2, exec_lo
.LBB35_233:
	s_or_b32 exec_lo, exec_lo, s0
	s_delay_alu instid0(SALU_CYCLE_1)
	s_and_b32 s2, s2, exec_lo
.LBB35_234:
	s_or_b32 exec_lo, exec_lo, s3
	s_xor_b32 s0, s2, -1
                                        ; implicit-def: $vgpr20_vgpr21
	s_delay_alu instid0(SALU_CYCLE_1) | instskip(NEXT) | instid1(SALU_CYCLE_1)
	s_and_saveexec_b32 s3, s0
	s_xor_b32 s0, exec_lo, s3
; %bb.235:
	v_lshl_add_u32 v20, v53, 3, v44
	ds_load_b64 v[20:21], v20 offset:8
; %bb.236:
	s_or_saveexec_b32 s0, s0
	s_wait_dscnt 0x0
	v_mov_b64_e32 v[22:23], v[18:19]
	s_xor_b32 exec_lo, exec_lo, s0
; %bb.237:
	v_lshl_add_u32 v20, v52, 3, v44
	ds_load_b64 v[22:23], v20 offset:8
	v_mov_b64_e32 v[20:21], v[16:17]
; %bb.238:
	s_or_b32 exec_lo, exec_lo, s0
	v_add_nc_u32_e32 v24, 1, v52
	s_mov_b32 s0, exec_lo
	s_delay_alu instid0(VALU_DEP_1) | instskip(NEXT) | instid1(VALU_DEP_1)
	v_dual_cndmask_b32 v54, v52, v24, s2 :: v_dual_add_nc_u32 v24, 1, v53
	v_cmpx_ge_i32_e64 v54, v50
	s_xor_b32 s0, exec_lo, s0
	s_delay_alu instid0(SALU_CYCLE_1) | instskip(NEXT) | instid1(VALU_DEP_2)
	s_or_saveexec_b32 s4, s0
	v_cndmask_b32_e64 v55, v24, v53, s2
	s_mov_b32 s3, 0
	s_xor_b32 exec_lo, exec_lo, s4
	s_cbranch_execz .LBB35_244
; %bb.239:
	s_delay_alu instid0(VALU_DEP_1) | instskip(SKIP_4) | instid1(SALU_CYCLE_1)
	v_cmp_lt_i32_e32 vcc_lo, v55, v48
	s_wait_dscnt 0x0
	v_cmp_nlt_f32_e64 s0, v22, v20
	s_mov_b32 s3, -1
	s_and_b32 s5, vcc_lo, s0
	s_and_saveexec_b32 s0, s5
	s_cbranch_execz .LBB35_243
; %bb.240:
	s_mov_b32 s3, 0
	s_mov_b32 s5, exec_lo
	v_cmpx_eq_f32_e32 v22, v20
; %bb.241:
	v_cmp_lt_f32_e32 vcc_lo, v23, v21
	s_and_b32 s3, vcc_lo, exec_lo
; %bb.242:
	s_or_b32 exec_lo, exec_lo, s5
	s_delay_alu instid0(SALU_CYCLE_1)
	s_or_not1_b32 s3, s3, exec_lo
.LBB35_243:
	s_or_b32 exec_lo, exec_lo, s0
	s_delay_alu instid0(SALU_CYCLE_1)
	s_and_b32 s3, s3, exec_lo
.LBB35_244:
	s_or_b32 exec_lo, exec_lo, s4
	s_xor_b32 s0, s3, -1
                                        ; implicit-def: $vgpr24_vgpr25
	s_delay_alu instid0(SALU_CYCLE_1) | instskip(NEXT) | instid1(SALU_CYCLE_1)
	s_and_saveexec_b32 s4, s0
	s_xor_b32 s0, exec_lo, s4
; %bb.245:
	v_lshl_add_u32 v24, v55, 3, v44
	ds_load_b64 v[24:25], v24 offset:8
; %bb.246:
	s_or_saveexec_b32 s0, s0
	s_wait_dscnt 0x0
	v_mov_b64_e32 v[26:27], v[22:23]
	s_xor_b32 exec_lo, exec_lo, s0
; %bb.247:
	v_lshl_add_u32 v24, v54, 3, v44
	ds_load_b64 v[26:27], v24 offset:8
	v_mov_b64_e32 v[24:25], v[20:21]
; %bb.248:
	s_or_b32 exec_lo, exec_lo, s0
	v_dual_add_nc_u32 v28, 1, v54 :: v_dual_add_nc_u32 v29, 1, v55
	s_mov_b32 s4, 0
	s_mov_b32 s5, exec_lo
	s_delay_alu instid0(VALU_DEP_1) | instskip(NEXT) | instid1(VALU_DEP_1)
	v_dual_cndmask_b32 v56, v54, v28, s3 :: v_dual_cndmask_b32 v57, v29, v55, s3
	v_cmpx_lt_i32_e64 v56, v50
	s_cbranch_execz .LBB35_254
; %bb.249:
	s_delay_alu instid0(VALU_DEP_2) | instskip(SKIP_4) | instid1(SALU_CYCLE_1)
	v_cmp_lt_i32_e32 vcc_lo, v57, v48
	s_wait_dscnt 0x0
	v_cmp_nlt_f32_e64 s0, v26, v24
	s_mov_b32 s4, -1
	s_and_b32 s6, vcc_lo, s0
	s_and_saveexec_b32 s0, s6
	s_cbranch_execz .LBB35_253
; %bb.250:
	s_mov_b32 s4, 0
	s_mov_b32 s6, exec_lo
	v_cmpx_eq_f32_e32 v26, v24
; %bb.251:
	v_cmp_lt_f32_e32 vcc_lo, v27, v25
	s_and_b32 s4, vcc_lo, exec_lo
; %bb.252:
	s_or_b32 exec_lo, exec_lo, s6
	s_delay_alu instid0(SALU_CYCLE_1)
	s_or_not1_b32 s4, s4, exec_lo
.LBB35_253:
	s_or_b32 exec_lo, exec_lo, s0
	s_delay_alu instid0(SALU_CYCLE_1)
	s_and_b32 s4, s4, exec_lo
.LBB35_254:
	s_or_b32 exec_lo, exec_lo, s5
	s_xor_b32 s0, s4, -1
                                        ; implicit-def: $vgpr28_vgpr29
	s_delay_alu instid0(SALU_CYCLE_1) | instskip(NEXT) | instid1(SALU_CYCLE_1)
	s_and_saveexec_b32 s5, s0
	s_xor_b32 s0, exec_lo, s5
; %bb.255:
	v_lshl_add_u32 v28, v57, 3, v44
	ds_load_b64 v[28:29], v28 offset:8
; %bb.256:
	s_or_saveexec_b32 s0, s0
	s_wait_dscnt 0x0
	v_mov_b64_e32 v[30:31], v[26:27]
	s_xor_b32 exec_lo, exec_lo, s0
; %bb.257:
	v_lshl_add_u32 v28, v56, 3, v44
	ds_load_b64 v[30:31], v28 offset:8
	v_mov_b64_e32 v[28:29], v[24:25]
; %bb.258:
	s_or_b32 exec_lo, exec_lo, s0
	v_add_nc_u32_e32 v32, 1, v56
	s_mov_b32 s0, exec_lo
	s_delay_alu instid0(VALU_DEP_1) | instskip(NEXT) | instid1(VALU_DEP_1)
	v_dual_cndmask_b32 v58, v56, v32, s4 :: v_dual_add_nc_u32 v32, 1, v57
	v_cmpx_ge_i32_e64 v58, v50
	s_xor_b32 s0, exec_lo, s0
	s_delay_alu instid0(SALU_CYCLE_1) | instskip(NEXT) | instid1(VALU_DEP_2)
	s_or_saveexec_b32 s6, s0
	v_cndmask_b32_e64 v59, v32, v57, s4
	s_mov_b32 s5, 0
	s_xor_b32 exec_lo, exec_lo, s6
	s_cbranch_execz .LBB35_264
; %bb.259:
	s_delay_alu instid0(VALU_DEP_1) | instskip(SKIP_4) | instid1(SALU_CYCLE_1)
	v_cmp_lt_i32_e32 vcc_lo, v59, v48
	s_wait_dscnt 0x0
	v_cmp_nlt_f32_e64 s0, v30, v28
	s_mov_b32 s5, -1
	s_and_b32 s7, vcc_lo, s0
	s_and_saveexec_b32 s0, s7
	s_cbranch_execz .LBB35_263
; %bb.260:
	s_mov_b32 s5, 0
	s_mov_b32 s7, exec_lo
	v_cmpx_eq_f32_e32 v30, v28
; %bb.261:
	v_cmp_lt_f32_e32 vcc_lo, v31, v29
	s_and_b32 s5, vcc_lo, exec_lo
; %bb.262:
	s_or_b32 exec_lo, exec_lo, s7
	s_delay_alu instid0(SALU_CYCLE_1)
	s_or_not1_b32 s5, s5, exec_lo
.LBB35_263:
	s_or_b32 exec_lo, exec_lo, s0
	s_delay_alu instid0(SALU_CYCLE_1)
	s_and_b32 s5, s5, exec_lo
.LBB35_264:
	s_or_b32 exec_lo, exec_lo, s6
	s_xor_b32 s0, s5, -1
                                        ; implicit-def: $vgpr32_vgpr33
	s_delay_alu instid0(SALU_CYCLE_1) | instskip(NEXT) | instid1(SALU_CYCLE_1)
	s_and_saveexec_b32 s6, s0
	s_xor_b32 s0, exec_lo, s6
; %bb.265:
	v_lshl_add_u32 v32, v59, 3, v44
	ds_load_b64 v[32:33], v32 offset:8
; %bb.266:
	s_or_saveexec_b32 s0, s0
	s_wait_dscnt 0x0
	v_mov_b64_e32 v[34:35], v[30:31]
	s_xor_b32 exec_lo, exec_lo, s0
; %bb.267:
	v_lshl_add_u32 v32, v58, 3, v44
	ds_load_b64 v[34:35], v32 offset:8
	v_mov_b64_e32 v[32:33], v[28:29]
; %bb.268:
	s_or_b32 exec_lo, exec_lo, s0
	v_dual_add_nc_u32 v36, 1, v58 :: v_dual_add_nc_u32 v37, 1, v59
	s_mov_b32 s6, 0
	s_mov_b32 s7, exec_lo
	s_delay_alu instid0(VALU_DEP_1) | instskip(NEXT) | instid1(VALU_DEP_1)
	v_dual_cndmask_b32 v60, v58, v36, s5 :: v_dual_cndmask_b32 v61, v37, v59, s5
	v_cmpx_lt_i32_e64 v60, v50
	s_cbranch_execz .LBB35_274
; %bb.269:
	s_delay_alu instid0(VALU_DEP_2) | instskip(SKIP_4) | instid1(SALU_CYCLE_1)
	v_cmp_lt_i32_e32 vcc_lo, v61, v48
	s_wait_dscnt 0x0
	v_cmp_nlt_f32_e64 s0, v34, v32
	s_mov_b32 s6, -1
	s_and_b32 s8, vcc_lo, s0
	s_and_saveexec_b32 s0, s8
	s_cbranch_execz .LBB35_273
; %bb.270:
	s_mov_b32 s6, 0
	s_mov_b32 s8, exec_lo
	v_cmpx_eq_f32_e32 v34, v32
; %bb.271:
	v_cmp_lt_f32_e32 vcc_lo, v35, v33
	s_and_b32 s6, vcc_lo, exec_lo
; %bb.272:
	s_or_b32 exec_lo, exec_lo, s8
	s_delay_alu instid0(SALU_CYCLE_1)
	s_or_not1_b32 s6, s6, exec_lo
.LBB35_273:
	s_or_b32 exec_lo, exec_lo, s0
	s_delay_alu instid0(SALU_CYCLE_1)
	s_and_b32 s6, s6, exec_lo
.LBB35_274:
	s_or_b32 exec_lo, exec_lo, s7
	s_xor_b32 s0, s6, -1
                                        ; implicit-def: $vgpr36_vgpr37
	s_delay_alu instid0(SALU_CYCLE_1) | instskip(NEXT) | instid1(SALU_CYCLE_1)
	s_and_saveexec_b32 s7, s0
	s_xor_b32 s0, exec_lo, s7
; %bb.275:
	v_lshl_add_u32 v36, v61, 3, v44
	ds_load_b64 v[36:37], v36 offset:8
; %bb.276:
	s_or_saveexec_b32 s0, s0
	s_wait_dscnt 0x0
	v_mov_b64_e32 v[40:41], v[34:35]
	s_xor_b32 exec_lo, exec_lo, s0
; %bb.277:
	v_lshl_add_u32 v36, v60, 3, v44
	ds_load_b64 v[40:41], v36 offset:8
	v_mov_b64_e32 v[36:37], v[32:33]
; %bb.278:
	s_or_b32 exec_lo, exec_lo, s0
	v_add_nc_u32_e32 v38, 1, v60
	s_mov_b32 s0, exec_lo
	s_delay_alu instid0(VALU_DEP_1) | instskip(NEXT) | instid1(VALU_DEP_1)
	v_dual_cndmask_b32 v62, v60, v38, s6 :: v_dual_add_nc_u32 v38, 1, v61
	v_cmpx_ge_i32_e64 v62, v50
	s_xor_b32 s0, exec_lo, s0
	s_delay_alu instid0(SALU_CYCLE_1) | instskip(NEXT) | instid1(VALU_DEP_2)
	s_or_saveexec_b32 s8, s0
	v_cndmask_b32_e64 v63, v38, v61, s6
	s_mov_b32 s7, 0
	s_xor_b32 exec_lo, exec_lo, s8
	s_cbranch_execz .LBB35_284
; %bb.279:
	s_delay_alu instid0(VALU_DEP_1) | instskip(SKIP_4) | instid1(SALU_CYCLE_1)
	v_cmp_lt_i32_e32 vcc_lo, v63, v48
	s_wait_dscnt 0x0
	v_cmp_nlt_f32_e64 s0, v40, v36
	s_mov_b32 s7, -1
	s_and_b32 s9, vcc_lo, s0
	s_and_saveexec_b32 s0, s9
	s_cbranch_execz .LBB35_283
; %bb.280:
	s_mov_b32 s7, 0
	s_mov_b32 s9, exec_lo
	v_cmpx_eq_f32_e32 v40, v36
; %bb.281:
	v_cmp_lt_f32_e32 vcc_lo, v41, v37
	s_and_b32 s7, vcc_lo, exec_lo
; %bb.282:
	s_or_b32 exec_lo, exec_lo, s9
	s_delay_alu instid0(SALU_CYCLE_1)
	s_or_not1_b32 s7, s7, exec_lo
.LBB35_283:
	s_or_b32 exec_lo, exec_lo, s0
	s_delay_alu instid0(SALU_CYCLE_1)
	s_and_b32 s7, s7, exec_lo
.LBB35_284:
	s_or_b32 exec_lo, exec_lo, s8
	s_xor_b32 s0, s7, -1
                                        ; implicit-def: $vgpr38_vgpr39
	s_delay_alu instid0(SALU_CYCLE_1) | instskip(NEXT) | instid1(SALU_CYCLE_1)
	s_and_saveexec_b32 s8, s0
	s_xor_b32 s0, exec_lo, s8
; %bb.285:
	v_lshl_add_u32 v38, v63, 3, v44
	ds_load_b64 v[38:39], v38 offset:8
; %bb.286:
	s_or_saveexec_b32 s0, s0
	s_wait_dscnt 0x0
	v_mov_b64_e32 v[42:43], v[40:41]
	s_xor_b32 exec_lo, exec_lo, s0
; %bb.287:
	v_lshl_add_u32 v38, v62, 3, v44
	ds_load_b64 v[42:43], v38 offset:8
	v_mov_b64_e32 v[38:39], v[36:37]
; %bb.288:
	s_or_b32 exec_lo, exec_lo, s0
	v_dual_add_nc_u32 v64, 1, v62 :: v_dual_add_nc_u32 v65, 1, v63
	s_mov_b32 s0, 0
	s_mov_b32 s8, exec_lo
	s_delay_alu instid0(VALU_DEP_1) | instskip(NEXT) | instid1(VALU_DEP_1)
	v_dual_cndmask_b32 v64, v62, v64, s7 :: v_dual_cndmask_b32 v65, v65, v63, s7
	v_cmpx_lt_i32_e64 v64, v50
	s_cbranch_execz .LBB35_294
; %bb.289:
	s_delay_alu instid0(VALU_DEP_2) | instskip(SKIP_4) | instid1(SALU_CYCLE_1)
	v_cmp_lt_i32_e32 vcc_lo, v65, v48
	s_wait_dscnt 0x0
	v_cmp_nlt_f32_e64 s0, v42, v38
	s_mov_b32 s9, -1
	s_and_b32 s10, vcc_lo, s0
	s_and_saveexec_b32 s0, s10
	s_cbranch_execz .LBB35_293
; %bb.290:
	s_mov_b32 s9, 0
	s_mov_b32 s10, exec_lo
	v_cmpx_eq_f32_e32 v42, v38
; %bb.291:
	v_cmp_lt_f32_e32 vcc_lo, v43, v39
	s_and_b32 s9, vcc_lo, exec_lo
; %bb.292:
	s_or_b32 exec_lo, exec_lo, s10
	s_delay_alu instid0(SALU_CYCLE_1)
	s_or_not1_b32 s9, s9, exec_lo
.LBB35_293:
	s_or_b32 exec_lo, exec_lo, s0
	s_delay_alu instid0(SALU_CYCLE_1)
	s_and_b32 s0, s9, exec_lo
.LBB35_294:
	s_or_b32 exec_lo, exec_lo, s8
	v_dual_cndmask_b32 v22, v20, v22, s3 :: v_dual_cndmask_b32 v23, v21, v23, s3
	v_dual_cndmask_b32 v20, v55, v54, s3 :: v_dual_cndmask_b32 v19, v17, v19, s2
	;; [unrolled: 1-line block ×10, first 2 shown]
	; wave barrier
	ds_store_2addr_b64 v47, v[6:7], v[10:11] offset1:1
	ds_store_2addr_b64 v47, v[4:5], v[8:9] offset0:2 offset1:3
	v_lshl_add_u32 v4, v21, 2, v44
	v_lshl_add_u32 v5, v17, 2, v44
	v_lshl_add_u32 v8, v20, 2, v44
	v_lshl_add_u32 v9, v26, 2, v44
	v_lshl_add_u32 v17, v30, 2, v44
	; wave barrier
	v_lshl_add_u32 v21, v34, 2, v44
	v_lshl_add_u32 v26, v40, 2, v44
	;; [unrolled: 1-line block ×3, first 2 shown]
	ds_load_b32 v6, v4
	ds_load_b32 v7, v5
	;; [unrolled: 1-line block ×8, first 2 shown]
	v_and_b32_e32 v20, 0x80, v45
	v_cndmask_b32_e64 v14, v12, v14, s1
	v_and_b32_e32 v16, 0x78, v45
	s_wait_dscnt 0xa
	v_dual_cndmask_b32 v27, v39, v43, s0 :: v_dual_cndmask_b32 v26, v38, v42, s0
	v_dual_cndmask_b32 v15, v13, v15, s1 :: v_dual_bitop2_b32 v48, 64, v20 bitop3:0x54
	s_delay_alu instid0(VALU_DEP_3) | instskip(SKIP_1) | instid1(VALU_DEP_2)
	v_sub_nc_u32_e64 v21, v16, 64 clamp
	s_mov_b32 s0, exec_lo
	v_sub_nc_u32_e32 v12, v48, v20
	; wave barrier
	ds_store_2addr_b64 v46, v[14:15], v[18:19] offset1:1
	ds_store_2addr_b64 v46, v[22:23], v[24:25] offset0:2 offset1:3
	ds_store_2addr_b64 v46, v[28:29], v[32:33] offset0:4 offset1:5
	;; [unrolled: 1-line block ×3, first 2 shown]
	v_min_i32_e32 v13, v16, v12
	v_lshl_add_u32 v12, v20, 3, v44
	; wave barrier
	s_delay_alu instid0(VALU_DEP_2)
	v_cmpx_lt_i32_e64 v21, v13
	s_cbranch_execz .LBB35_302
; %bb.295:
	s_delay_alu instid0(VALU_DEP_2)
	v_lshl_add_u32 v14, v16, 3, v12
	s_mov_b32 s1, 0
                                        ; implicit-def: $sgpr2
	s_branch .LBB35_298
.LBB35_296:                             ;   in Loop: Header=BB35_298 Depth=1
	s_or_b32 exec_lo, exec_lo, s5
	s_delay_alu instid0(SALU_CYCLE_1) | instskip(SKIP_1) | instid1(SALU_CYCLE_1)
	s_and_not1_b32 s2, s2, exec_lo
	s_and_b32 s4, s4, exec_lo
	s_or_b32 s2, s2, s4
.LBB35_297:                             ;   in Loop: Header=BB35_298 Depth=1
	s_or_b32 exec_lo, exec_lo, s3
	v_dual_add_nc_u32 v17, 1, v15 :: v_dual_cndmask_b32 v13, v13, v15, s2
	s_delay_alu instid0(VALU_DEP_1) | instskip(NEXT) | instid1(VALU_DEP_1)
	v_cndmask_b32_e64 v21, v17, v21, s2
	v_cmp_ge_i32_e32 vcc_lo, v21, v13
	s_or_b32 s1, vcc_lo, s1
	s_delay_alu instid0(SALU_CYCLE_1)
	s_and_not1_b32 exec_lo, exec_lo, s1
	s_cbranch_execz .LBB35_301
.LBB35_298:                             ; =>This Inner Loop Header: Depth=1
	v_sub_nc_u32_e32 v15, v13, v21
	s_or_b32 s2, s2, exec_lo
	s_mov_b32 s3, exec_lo
	s_delay_alu instid0(VALU_DEP_1) | instskip(NEXT) | instid1(VALU_DEP_1)
	v_lshrrev_b32_e32 v15, 1, v15
	v_add_nc_u32_e32 v15, v15, v21
	s_delay_alu instid0(VALU_DEP_1) | instskip(SKIP_1) | instid1(VALU_DEP_2)
	v_not_b32_e32 v18, v15
	v_lshl_add_u32 v17, v15, 3, v12
	v_lshl_add_u32 v18, v18, 3, v14
	ds_load_b32 v19, v17
	ds_load_b32 v22, v18 offset:512
	s_wait_dscnt 0x0
	v_cmpx_nlt_f32_e32 v22, v19
	s_cbranch_execz .LBB35_297
; %bb.299:                              ;   in Loop: Header=BB35_298 Depth=1
	s_mov_b32 s4, 0
	s_mov_b32 s5, exec_lo
	v_cmpx_eq_f32_e32 v22, v19
	s_cbranch_execz .LBB35_296
; %bb.300:                              ;   in Loop: Header=BB35_298 Depth=1
	ds_load_b32 v18, v18 offset:516
	ds_load_b32 v17, v17 offset:4
	s_wait_dscnt 0x0
	v_cmp_lt_f32_e32 vcc_lo, v18, v17
	s_and_b32 s4, vcc_lo, exec_lo
	s_branch .LBB35_296
.LBB35_301:
	s_or_b32 exec_lo, exec_lo, s1
.LBB35_302:
	s_delay_alu instid0(SALU_CYCLE_1) | instskip(SKIP_4) | instid1(VALU_DEP_3)
	s_or_b32 exec_lo, exec_lo, s0
	v_add_nc_u32_e32 v13, v20, v16
	v_lshl_add_u32 v18, v21, 3, v12
	v_add_nc_u32_e32 v50, 0x80, v20
	s_mov_b32 s0, exec_lo
	v_dual_add_nc_u32 v16, v48, v16 :: v_dual_sub_nc_u32 v13, v13, v21
	s_delay_alu instid0(VALU_DEP_1) | instskip(NEXT) | instid1(VALU_DEP_2)
	v_sub_nc_u32_e32 v49, v16, v21
	v_lshl_add_u32 v22, v13, 3, v44
	ds_load_b64 v[12:13], v18
	ds_load_b64 v[14:15], v22 offset:512
	v_cmpx_le_i32_e64 v50, v49
	s_xor_b32 s0, exec_lo, s0
	s_delay_alu instid0(SALU_CYCLE_1)
	s_or_saveexec_b32 s2, s0
	s_mov_b32 s1, 0
	s_xor_b32 exec_lo, exec_lo, s2
	s_cbranch_execz .LBB35_308
; %bb.303:
	v_cmp_gt_i32_e32 vcc_lo, 64, v21
	s_wait_dscnt 0x0
	v_cmp_nlt_f32_e64 s0, v14, v12
	s_mov_b32 s1, -1
	s_and_b32 s3, vcc_lo, s0
	s_delay_alu instid0(SALU_CYCLE_1)
	s_and_saveexec_b32 s0, s3
	s_cbranch_execz .LBB35_307
; %bb.304:
	s_mov_b32 s1, 0
	s_mov_b32 s3, exec_lo
	v_cmpx_eq_f32_e32 v14, v12
; %bb.305:
	v_cmp_lt_f32_e32 vcc_lo, v15, v13
	s_and_b32 s1, vcc_lo, exec_lo
; %bb.306:
	s_or_b32 exec_lo, exec_lo, s3
	s_delay_alu instid0(SALU_CYCLE_1)
	s_or_not1_b32 s1, s1, exec_lo
.LBB35_307:
	s_or_b32 exec_lo, exec_lo, s0
	s_delay_alu instid0(SALU_CYCLE_1)
	s_and_b32 s1, s1, exec_lo
.LBB35_308:
	s_or_b32 exec_lo, exec_lo, s2
	s_xor_b32 s0, s1, -1
                                        ; implicit-def: $vgpr16_vgpr17
	s_delay_alu instid0(SALU_CYCLE_1) | instskip(NEXT) | instid1(SALU_CYCLE_1)
	s_and_saveexec_b32 s2, s0
	s_xor_b32 s0, exec_lo, s2
; %bb.309:
	ds_load_b64 v[16:17], v18 offset:8
                                        ; implicit-def: $vgpr22
; %bb.310:
	s_or_saveexec_b32 s0, s0
	s_wait_dscnt 0x0
	v_mov_b64_e32 v[18:19], v[14:15]
	s_xor_b32 exec_lo, exec_lo, s0
; %bb.311:
	ds_load_b64 v[18:19], v22 offset:520
	v_mov_b64_e32 v[16:17], v[12:13]
; %bb.312:
	s_or_b32 exec_lo, exec_lo, s0
	v_dual_add_nc_u32 v51, v21, v20 :: v_dual_add_nc_u32 v20, 1, v49
	s_mov_b32 s2, 0
	s_mov_b32 s3, exec_lo
	s_delay_alu instid0(VALU_DEP_1) | instskip(NEXT) | instid1(VALU_DEP_1)
	v_dual_add_nc_u32 v21, 1, v51 :: v_dual_cndmask_b32 v52, v49, v20, s1
	v_cndmask_b32_e64 v53, v21, v51, s1
	s_delay_alu instid0(VALU_DEP_2)
	v_cmpx_lt_i32_e64 v52, v50
	s_cbranch_execz .LBB35_318
; %bb.313:
	s_delay_alu instid0(VALU_DEP_2) | instskip(SKIP_4) | instid1(SALU_CYCLE_1)
	v_cmp_lt_i32_e32 vcc_lo, v53, v48
	s_wait_dscnt 0x0
	v_cmp_nlt_f32_e64 s0, v18, v16
	s_mov_b32 s2, -1
	s_and_b32 s4, vcc_lo, s0
	s_and_saveexec_b32 s0, s4
	s_cbranch_execz .LBB35_317
; %bb.314:
	s_mov_b32 s2, 0
	s_mov_b32 s4, exec_lo
	v_cmpx_eq_f32_e32 v18, v16
; %bb.315:
	v_cmp_lt_f32_e32 vcc_lo, v19, v17
	s_and_b32 s2, vcc_lo, exec_lo
; %bb.316:
	s_or_b32 exec_lo, exec_lo, s4
	s_delay_alu instid0(SALU_CYCLE_1)
	s_or_not1_b32 s2, s2, exec_lo
.LBB35_317:
	s_or_b32 exec_lo, exec_lo, s0
	s_delay_alu instid0(SALU_CYCLE_1)
	s_and_b32 s2, s2, exec_lo
.LBB35_318:
	s_or_b32 exec_lo, exec_lo, s3
	s_xor_b32 s0, s2, -1
                                        ; implicit-def: $vgpr20_vgpr21
	s_delay_alu instid0(SALU_CYCLE_1) | instskip(NEXT) | instid1(SALU_CYCLE_1)
	s_and_saveexec_b32 s3, s0
	s_xor_b32 s0, exec_lo, s3
; %bb.319:
	v_lshl_add_u32 v20, v53, 3, v44
	ds_load_b64 v[20:21], v20 offset:8
; %bb.320:
	s_or_saveexec_b32 s0, s0
	s_wait_dscnt 0x0
	v_mov_b64_e32 v[22:23], v[18:19]
	s_xor_b32 exec_lo, exec_lo, s0
; %bb.321:
	v_lshl_add_u32 v20, v52, 3, v44
	ds_load_b64 v[22:23], v20 offset:8
	v_mov_b64_e32 v[20:21], v[16:17]
; %bb.322:
	s_or_b32 exec_lo, exec_lo, s0
	v_add_nc_u32_e32 v24, 1, v52
	s_mov_b32 s0, exec_lo
	s_delay_alu instid0(VALU_DEP_1) | instskip(NEXT) | instid1(VALU_DEP_1)
	v_dual_cndmask_b32 v54, v52, v24, s2 :: v_dual_add_nc_u32 v24, 1, v53
	v_cmpx_ge_i32_e64 v54, v50
	s_xor_b32 s0, exec_lo, s0
	s_delay_alu instid0(SALU_CYCLE_1) | instskip(NEXT) | instid1(VALU_DEP_2)
	s_or_saveexec_b32 s4, s0
	v_cndmask_b32_e64 v55, v24, v53, s2
	s_mov_b32 s3, 0
	s_xor_b32 exec_lo, exec_lo, s4
	s_cbranch_execz .LBB35_328
; %bb.323:
	s_delay_alu instid0(VALU_DEP_1) | instskip(SKIP_4) | instid1(SALU_CYCLE_1)
	v_cmp_lt_i32_e32 vcc_lo, v55, v48
	s_wait_dscnt 0x0
	v_cmp_nlt_f32_e64 s0, v22, v20
	s_mov_b32 s3, -1
	s_and_b32 s5, vcc_lo, s0
	s_and_saveexec_b32 s0, s5
	s_cbranch_execz .LBB35_327
; %bb.324:
	s_mov_b32 s3, 0
	s_mov_b32 s5, exec_lo
	v_cmpx_eq_f32_e32 v22, v20
; %bb.325:
	v_cmp_lt_f32_e32 vcc_lo, v23, v21
	s_and_b32 s3, vcc_lo, exec_lo
; %bb.326:
	s_or_b32 exec_lo, exec_lo, s5
	s_delay_alu instid0(SALU_CYCLE_1)
	s_or_not1_b32 s3, s3, exec_lo
.LBB35_327:
	s_or_b32 exec_lo, exec_lo, s0
	s_delay_alu instid0(SALU_CYCLE_1)
	s_and_b32 s3, s3, exec_lo
.LBB35_328:
	s_or_b32 exec_lo, exec_lo, s4
	s_xor_b32 s0, s3, -1
                                        ; implicit-def: $vgpr24_vgpr25
	s_delay_alu instid0(SALU_CYCLE_1) | instskip(NEXT) | instid1(SALU_CYCLE_1)
	s_and_saveexec_b32 s4, s0
	s_xor_b32 s0, exec_lo, s4
; %bb.329:
	v_lshl_add_u32 v24, v55, 3, v44
	ds_load_b64 v[24:25], v24 offset:8
; %bb.330:
	s_or_saveexec_b32 s0, s0
	s_wait_dscnt 0x0
	v_mov_b64_e32 v[26:27], v[22:23]
	s_xor_b32 exec_lo, exec_lo, s0
; %bb.331:
	v_lshl_add_u32 v24, v54, 3, v44
	ds_load_b64 v[26:27], v24 offset:8
	v_mov_b64_e32 v[24:25], v[20:21]
; %bb.332:
	s_or_b32 exec_lo, exec_lo, s0
	v_dual_add_nc_u32 v28, 1, v54 :: v_dual_add_nc_u32 v29, 1, v55
	s_mov_b32 s4, 0
	s_mov_b32 s5, exec_lo
	s_delay_alu instid0(VALU_DEP_1) | instskip(NEXT) | instid1(VALU_DEP_1)
	v_dual_cndmask_b32 v56, v54, v28, s3 :: v_dual_cndmask_b32 v57, v29, v55, s3
	v_cmpx_lt_i32_e64 v56, v50
	s_cbranch_execz .LBB35_338
; %bb.333:
	s_delay_alu instid0(VALU_DEP_2) | instskip(SKIP_4) | instid1(SALU_CYCLE_1)
	v_cmp_lt_i32_e32 vcc_lo, v57, v48
	s_wait_dscnt 0x0
	v_cmp_nlt_f32_e64 s0, v26, v24
	s_mov_b32 s4, -1
	s_and_b32 s6, vcc_lo, s0
	s_and_saveexec_b32 s0, s6
	s_cbranch_execz .LBB35_337
; %bb.334:
	s_mov_b32 s4, 0
	s_mov_b32 s6, exec_lo
	v_cmpx_eq_f32_e32 v26, v24
; %bb.335:
	v_cmp_lt_f32_e32 vcc_lo, v27, v25
	s_and_b32 s4, vcc_lo, exec_lo
; %bb.336:
	s_or_b32 exec_lo, exec_lo, s6
	s_delay_alu instid0(SALU_CYCLE_1)
	s_or_not1_b32 s4, s4, exec_lo
.LBB35_337:
	s_or_b32 exec_lo, exec_lo, s0
	s_delay_alu instid0(SALU_CYCLE_1)
	s_and_b32 s4, s4, exec_lo
.LBB35_338:
	s_or_b32 exec_lo, exec_lo, s5
	s_xor_b32 s0, s4, -1
                                        ; implicit-def: $vgpr28_vgpr29
	s_delay_alu instid0(SALU_CYCLE_1) | instskip(NEXT) | instid1(SALU_CYCLE_1)
	s_and_saveexec_b32 s5, s0
	s_xor_b32 s0, exec_lo, s5
; %bb.339:
	v_lshl_add_u32 v28, v57, 3, v44
	ds_load_b64 v[28:29], v28 offset:8
; %bb.340:
	s_or_saveexec_b32 s0, s0
	s_wait_dscnt 0x0
	v_mov_b64_e32 v[30:31], v[26:27]
	s_xor_b32 exec_lo, exec_lo, s0
; %bb.341:
	v_lshl_add_u32 v28, v56, 3, v44
	ds_load_b64 v[30:31], v28 offset:8
	v_mov_b64_e32 v[28:29], v[24:25]
; %bb.342:
	s_or_b32 exec_lo, exec_lo, s0
	v_add_nc_u32_e32 v32, 1, v56
	s_mov_b32 s0, exec_lo
	s_delay_alu instid0(VALU_DEP_1) | instskip(NEXT) | instid1(VALU_DEP_1)
	v_dual_cndmask_b32 v58, v56, v32, s4 :: v_dual_add_nc_u32 v32, 1, v57
	v_cmpx_ge_i32_e64 v58, v50
	s_xor_b32 s0, exec_lo, s0
	s_delay_alu instid0(SALU_CYCLE_1) | instskip(NEXT) | instid1(VALU_DEP_2)
	s_or_saveexec_b32 s6, s0
	v_cndmask_b32_e64 v59, v32, v57, s4
	s_mov_b32 s5, 0
	s_xor_b32 exec_lo, exec_lo, s6
	s_cbranch_execz .LBB35_348
; %bb.343:
	s_delay_alu instid0(VALU_DEP_1) | instskip(SKIP_4) | instid1(SALU_CYCLE_1)
	v_cmp_lt_i32_e32 vcc_lo, v59, v48
	s_wait_dscnt 0x0
	v_cmp_nlt_f32_e64 s0, v30, v28
	s_mov_b32 s5, -1
	s_and_b32 s7, vcc_lo, s0
	s_and_saveexec_b32 s0, s7
	s_cbranch_execz .LBB35_347
; %bb.344:
	s_mov_b32 s5, 0
	s_mov_b32 s7, exec_lo
	v_cmpx_eq_f32_e32 v30, v28
; %bb.345:
	v_cmp_lt_f32_e32 vcc_lo, v31, v29
	s_and_b32 s5, vcc_lo, exec_lo
; %bb.346:
	s_or_b32 exec_lo, exec_lo, s7
	s_delay_alu instid0(SALU_CYCLE_1)
	s_or_not1_b32 s5, s5, exec_lo
.LBB35_347:
	s_or_b32 exec_lo, exec_lo, s0
	s_delay_alu instid0(SALU_CYCLE_1)
	s_and_b32 s5, s5, exec_lo
.LBB35_348:
	s_or_b32 exec_lo, exec_lo, s6
	s_xor_b32 s0, s5, -1
                                        ; implicit-def: $vgpr32_vgpr33
	s_delay_alu instid0(SALU_CYCLE_1) | instskip(NEXT) | instid1(SALU_CYCLE_1)
	s_and_saveexec_b32 s6, s0
	s_xor_b32 s0, exec_lo, s6
; %bb.349:
	v_lshl_add_u32 v32, v59, 3, v44
	ds_load_b64 v[32:33], v32 offset:8
; %bb.350:
	s_or_saveexec_b32 s0, s0
	s_wait_dscnt 0x0
	v_mov_b64_e32 v[34:35], v[30:31]
	s_xor_b32 exec_lo, exec_lo, s0
; %bb.351:
	v_lshl_add_u32 v32, v58, 3, v44
	ds_load_b64 v[34:35], v32 offset:8
	v_mov_b64_e32 v[32:33], v[28:29]
; %bb.352:
	s_or_b32 exec_lo, exec_lo, s0
	v_dual_add_nc_u32 v36, 1, v58 :: v_dual_add_nc_u32 v37, 1, v59
	s_mov_b32 s6, 0
	s_mov_b32 s7, exec_lo
	s_delay_alu instid0(VALU_DEP_1) | instskip(NEXT) | instid1(VALU_DEP_1)
	v_dual_cndmask_b32 v60, v58, v36, s5 :: v_dual_cndmask_b32 v61, v37, v59, s5
	v_cmpx_lt_i32_e64 v60, v50
	s_cbranch_execz .LBB35_358
; %bb.353:
	s_delay_alu instid0(VALU_DEP_2) | instskip(SKIP_4) | instid1(SALU_CYCLE_1)
	v_cmp_lt_i32_e32 vcc_lo, v61, v48
	s_wait_dscnt 0x0
	v_cmp_nlt_f32_e64 s0, v34, v32
	s_mov_b32 s6, -1
	s_and_b32 s8, vcc_lo, s0
	s_and_saveexec_b32 s0, s8
	s_cbranch_execz .LBB35_357
; %bb.354:
	s_mov_b32 s6, 0
	s_mov_b32 s8, exec_lo
	v_cmpx_eq_f32_e32 v34, v32
; %bb.355:
	v_cmp_lt_f32_e32 vcc_lo, v35, v33
	s_and_b32 s6, vcc_lo, exec_lo
; %bb.356:
	s_or_b32 exec_lo, exec_lo, s8
	s_delay_alu instid0(SALU_CYCLE_1)
	s_or_not1_b32 s6, s6, exec_lo
.LBB35_357:
	s_or_b32 exec_lo, exec_lo, s0
	s_delay_alu instid0(SALU_CYCLE_1)
	s_and_b32 s6, s6, exec_lo
.LBB35_358:
	s_or_b32 exec_lo, exec_lo, s7
	s_xor_b32 s0, s6, -1
                                        ; implicit-def: $vgpr36_vgpr37
	s_delay_alu instid0(SALU_CYCLE_1) | instskip(NEXT) | instid1(SALU_CYCLE_1)
	s_and_saveexec_b32 s7, s0
	s_xor_b32 s0, exec_lo, s7
; %bb.359:
	v_lshl_add_u32 v36, v61, 3, v44
	ds_load_b64 v[36:37], v36 offset:8
; %bb.360:
	s_or_saveexec_b32 s0, s0
	s_wait_dscnt 0x0
	v_mov_b64_e32 v[38:39], v[34:35]
	s_xor_b32 exec_lo, exec_lo, s0
; %bb.361:
	v_lshl_add_u32 v36, v60, 3, v44
	ds_load_b64 v[38:39], v36 offset:8
	v_mov_b64_e32 v[36:37], v[32:33]
; %bb.362:
	s_or_b32 exec_lo, exec_lo, s0
	v_add_nc_u32_e32 v40, 1, v60
	s_mov_b32 s0, exec_lo
	s_delay_alu instid0(VALU_DEP_1) | instskip(NEXT) | instid1(VALU_DEP_1)
	v_dual_cndmask_b32 v62, v60, v40, s6 :: v_dual_add_nc_u32 v40, 1, v61
	v_cmpx_ge_i32_e64 v62, v50
	s_xor_b32 s0, exec_lo, s0
	s_delay_alu instid0(SALU_CYCLE_1) | instskip(NEXT) | instid1(VALU_DEP_2)
	s_or_saveexec_b32 s8, s0
	v_cndmask_b32_e64 v63, v40, v61, s6
	s_mov_b32 s7, 0
	s_xor_b32 exec_lo, exec_lo, s8
	s_cbranch_execz .LBB35_368
; %bb.363:
	s_delay_alu instid0(VALU_DEP_1) | instskip(SKIP_4) | instid1(SALU_CYCLE_1)
	v_cmp_lt_i32_e32 vcc_lo, v63, v48
	s_wait_dscnt 0x0
	v_cmp_nlt_f32_e64 s0, v38, v36
	s_mov_b32 s7, -1
	s_and_b32 s9, vcc_lo, s0
	s_and_saveexec_b32 s0, s9
	s_cbranch_execz .LBB35_367
; %bb.364:
	s_mov_b32 s7, 0
	s_mov_b32 s9, exec_lo
	v_cmpx_eq_f32_e32 v38, v36
; %bb.365:
	v_cmp_lt_f32_e32 vcc_lo, v39, v37
	s_and_b32 s7, vcc_lo, exec_lo
; %bb.366:
	s_or_b32 exec_lo, exec_lo, s9
	s_delay_alu instid0(SALU_CYCLE_1)
	s_or_not1_b32 s7, s7, exec_lo
.LBB35_367:
	s_or_b32 exec_lo, exec_lo, s0
	s_delay_alu instid0(SALU_CYCLE_1)
	s_and_b32 s7, s7, exec_lo
.LBB35_368:
	s_or_b32 exec_lo, exec_lo, s8
	s_xor_b32 s0, s7, -1
                                        ; implicit-def: $vgpr40_vgpr41
	s_delay_alu instid0(SALU_CYCLE_1) | instskip(NEXT) | instid1(SALU_CYCLE_1)
	s_and_saveexec_b32 s8, s0
	s_xor_b32 s0, exec_lo, s8
; %bb.369:
	v_lshl_add_u32 v40, v63, 3, v44
	ds_load_b64 v[40:41], v40 offset:8
; %bb.370:
	s_or_saveexec_b32 s0, s0
	s_wait_dscnt 0x0
	v_mov_b64_e32 v[42:43], v[38:39]
	s_xor_b32 exec_lo, exec_lo, s0
; %bb.371:
	v_lshl_add_u32 v40, v62, 3, v44
	ds_load_b64 v[42:43], v40 offset:8
	v_mov_b64_e32 v[40:41], v[36:37]
; %bb.372:
	s_or_b32 exec_lo, exec_lo, s0
	v_dual_add_nc_u32 v64, 1, v62 :: v_dual_add_nc_u32 v65, 1, v63
	s_mov_b32 s0, 0
	s_mov_b32 s8, exec_lo
	s_delay_alu instid0(VALU_DEP_1) | instskip(NEXT) | instid1(VALU_DEP_1)
	v_dual_cndmask_b32 v64, v62, v64, s7 :: v_dual_cndmask_b32 v65, v65, v63, s7
	v_cmpx_lt_i32_e64 v64, v50
	s_cbranch_execz .LBB35_378
; %bb.373:
	s_delay_alu instid0(VALU_DEP_2) | instskip(SKIP_4) | instid1(SALU_CYCLE_1)
	v_cmp_lt_i32_e32 vcc_lo, v65, v48
	s_wait_dscnt 0x0
	v_cmp_nlt_f32_e64 s0, v42, v40
	s_mov_b32 s9, -1
	s_and_b32 s10, vcc_lo, s0
	s_and_saveexec_b32 s0, s10
	s_cbranch_execz .LBB35_377
; %bb.374:
	s_mov_b32 s9, 0
	s_mov_b32 s10, exec_lo
	v_cmpx_eq_f32_e32 v42, v40
; %bb.375:
	v_cmp_lt_f32_e32 vcc_lo, v43, v41
	s_and_b32 s9, vcc_lo, exec_lo
; %bb.376:
	s_or_b32 exec_lo, exec_lo, s10
	s_delay_alu instid0(SALU_CYCLE_1)
	s_or_not1_b32 s9, s9, exec_lo
.LBB35_377:
	s_or_b32 exec_lo, exec_lo, s0
	s_delay_alu instid0(SALU_CYCLE_1)
	s_and_b32 s0, s9, exec_lo
.LBB35_378:
	s_or_b32 exec_lo, exec_lo, s8
	v_dual_cndmask_b32 v36, v36, v38, s7 :: v_dual_cndmask_b32 v37, v37, v39, s7
	v_dual_cndmask_b32 v38, v63, v62, s7 :: v_dual_cndmask_b32 v33, v33, v35, s6
	;; [unrolled: 1-line block ×8, first 2 shown]
	; wave barrier
	ds_store_2addr_b64 v47, v[6:7], v[10:11] offset1:1
	ds_store_2addr_b64 v47, v[4:5], v[8:9] offset0:2 offset1:3
	v_lshl_add_u32 v4, v35, 2, v44
	v_lshl_add_u32 v5, v31, 2, v44
	;; [unrolled: 1-line block ×5, first 2 shown]
	; wave barrier
	v_lshl_add_u32 v27, v34, 2, v44
	v_lshl_add_u32 v30, v38, 2, v44
	;; [unrolled: 1-line block ×3, first 2 shown]
	ds_load_b32 v6, v4
	ds_load_b32 v7, v5
	;; [unrolled: 1-line block ×8, first 2 shown]
	v_dual_cndmask_b32 v17, v17, v19, s2 :: v_dual_cndmask_b32 v16, v16, v18, s2
	v_dual_cndmask_b32 v14, v12, v14, s1 :: v_dual_cndmask_b32 v15, v13, v15, s1
	v_subrev_nc_u32_e64 v48, 0x80, v45 clamp
	v_min_i32_e32 v12, 0x80, v45
	v_dual_cndmask_b32 v20, v20, v22, s3 :: v_dual_cndmask_b32 v21, v21, v23, s3
	s_wait_dscnt 0xa
	v_dual_cndmask_b32 v19, v41, v43, s0 :: v_dual_cndmask_b32 v18, v40, v42, s0
	s_mov_b32 s0, exec_lo
	; wave barrier
	ds_store_2addr_b64 v46, v[14:15], v[16:17] offset1:1
	ds_store_2addr_b64 v46, v[20:21], v[24:25] offset0:2 offset1:3
	ds_store_2addr_b64 v46, v[28:29], v[32:33] offset0:4 offset1:5
	;; [unrolled: 1-line block ×3, first 2 shown]
	; wave barrier
	v_cmpx_lt_u32_e64 v48, v12
	s_cbranch_execz .LBB35_386
; %bb.379:
	s_mov_b32 s1, 0
                                        ; implicit-def: $sgpr2
	s_branch .LBB35_382
.LBB35_380:                             ;   in Loop: Header=BB35_382 Depth=1
	s_or_b32 exec_lo, exec_lo, s5
	s_delay_alu instid0(SALU_CYCLE_1) | instskip(SKIP_1) | instid1(SALU_CYCLE_1)
	s_and_not1_b32 s2, s2, exec_lo
	s_and_b32 s4, s4, exec_lo
	s_or_b32 s2, s2, s4
.LBB35_381:                             ;   in Loop: Header=BB35_382 Depth=1
	s_or_b32 exec_lo, exec_lo, s3
	v_dual_add_nc_u32 v14, 1, v13 :: v_dual_cndmask_b32 v12, v12, v13, s2
	s_delay_alu instid0(VALU_DEP_1) | instskip(NEXT) | instid1(VALU_DEP_1)
	v_cndmask_b32_e64 v48, v14, v48, s2
	v_cmp_ge_i32_e32 vcc_lo, v48, v12
	s_or_b32 s1, vcc_lo, s1
	s_delay_alu instid0(SALU_CYCLE_1)
	s_and_not1_b32 exec_lo, exec_lo, s1
	s_cbranch_execz .LBB35_385
.LBB35_382:                             ; =>This Inner Loop Header: Depth=1
	v_sub_nc_u32_e32 v13, v12, v48
	s_or_b32 s2, s2, exec_lo
	s_mov_b32 s3, exec_lo
	s_delay_alu instid0(VALU_DEP_1) | instskip(NEXT) | instid1(VALU_DEP_1)
	v_lshrrev_b32_e32 v13, 1, v13
	v_add_nc_u32_e32 v13, v13, v48
	s_delay_alu instid0(VALU_DEP_1) | instskip(SKIP_1) | instid1(VALU_DEP_2)
	v_not_b32_e32 v15, v13
	v_lshl_add_u32 v14, v13, 3, v44
	v_lshl_add_u32 v15, v15, 3, v46
	ds_load_b32 v16, v14
	ds_load_b32 v17, v15 offset:1024
	s_wait_dscnt 0x0
	v_cmpx_nlt_f32_e32 v17, v16
	s_cbranch_execz .LBB35_381
; %bb.383:                              ;   in Loop: Header=BB35_382 Depth=1
	s_mov_b32 s4, 0
	s_mov_b32 s5, exec_lo
	v_cmpx_eq_f32_e32 v17, v16
	s_cbranch_execz .LBB35_380
; %bb.384:                              ;   in Loop: Header=BB35_382 Depth=1
	ds_load_b32 v15, v15 offset:1028
	ds_load_b32 v14, v14 offset:4
	s_wait_dscnt 0x0
	v_cmp_lt_f32_e32 vcc_lo, v15, v14
	s_and_b32 s4, vcc_lo, exec_lo
	s_branch .LBB35_380
.LBB35_385:
	s_or_b32 exec_lo, exec_lo, s1
.LBB35_386:
	s_delay_alu instid0(SALU_CYCLE_1) | instskip(SKIP_4) | instid1(VALU_DEP_2)
	s_or_b32 exec_lo, exec_lo, s0
	v_sub_nc_u32_e32 v16, v45, v48
	v_lshl_add_u32 v18, v48, 3, v44
	s_mov_b32 s1, 0
	s_mov_b32 s2, exec_lo
	v_lshl_add_u32 v20, v16, 3, v44
	v_add_nc_u32_e32 v45, 0x80, v16
	ds_load_b64 v[12:13], v18
	ds_load_b64 v[14:15], v20 offset:1024
	v_cmpx_gt_i32_e32 0x100, v45
	s_cbranch_execz .LBB35_392
; %bb.387:
	v_cmp_gt_i32_e32 vcc_lo, 0x80, v48
	s_wait_dscnt 0x0
	v_cmp_nlt_f32_e64 s0, v14, v12
	s_mov_b32 s1, -1
	s_and_b32 s3, vcc_lo, s0
	s_delay_alu instid0(SALU_CYCLE_1)
	s_and_saveexec_b32 s0, s3
	s_cbranch_execz .LBB35_391
; %bb.388:
	s_mov_b32 s1, 0
	s_mov_b32 s3, exec_lo
	v_cmpx_eq_f32_e32 v14, v12
; %bb.389:
	v_cmp_lt_f32_e32 vcc_lo, v15, v13
	s_and_b32 s1, vcc_lo, exec_lo
; %bb.390:
	s_or_b32 exec_lo, exec_lo, s3
	s_delay_alu instid0(SALU_CYCLE_1)
	s_or_not1_b32 s1, s1, exec_lo
.LBB35_391:
	s_or_b32 exec_lo, exec_lo, s0
	s_delay_alu instid0(SALU_CYCLE_1)
	s_and_b32 s1, s1, exec_lo
.LBB35_392:
	s_or_b32 exec_lo, exec_lo, s2
	s_xor_b32 s0, s1, -1
                                        ; implicit-def: $vgpr16_vgpr17
	s_delay_alu instid0(SALU_CYCLE_1) | instskip(NEXT) | instid1(SALU_CYCLE_1)
	s_and_saveexec_b32 s2, s0
	s_xor_b32 s0, exec_lo, s2
; %bb.393:
	ds_load_b64 v[16:17], v18 offset:8
                                        ; implicit-def: $vgpr20
; %bb.394:
	s_or_saveexec_b32 s0, s0
	s_wait_dscnt 0x0
	v_mov_b64_e32 v[18:19], v[14:15]
	s_xor_b32 exec_lo, exec_lo, s0
; %bb.395:
	ds_load_b64 v[18:19], v20 offset:1032
	v_mov_b64_e32 v[16:17], v[12:13]
; %bb.396:
	s_or_b32 exec_lo, exec_lo, s0
	v_dual_add_nc_u32 v20, 1, v45 :: v_dual_add_nc_u32 v21, 1, v48
	s_mov_b32 s2, 0
	s_mov_b32 s3, exec_lo
	s_delay_alu instid0(VALU_DEP_1) | instskip(NEXT) | instid1(VALU_DEP_2)
	v_cndmask_b32_e64 v46, v45, v20, s1
	v_cndmask_b32_e64 v49, v21, v48, s1
	s_delay_alu instid0(VALU_DEP_2)
	v_cmpx_gt_i32_e32 0x100, v46
	s_cbranch_execz .LBB35_402
; %bb.397:
	s_delay_alu instid0(VALU_DEP_2) | instskip(SKIP_4) | instid1(SALU_CYCLE_1)
	v_cmp_gt_i32_e32 vcc_lo, 0x80, v49
	s_wait_dscnt 0x0
	v_cmp_nlt_f32_e64 s0, v18, v16
	s_mov_b32 s2, -1
	s_and_b32 s4, vcc_lo, s0
	s_and_saveexec_b32 s0, s4
	s_cbranch_execz .LBB35_401
; %bb.398:
	s_mov_b32 s2, 0
	s_mov_b32 s4, exec_lo
	v_cmpx_eq_f32_e32 v18, v16
; %bb.399:
	v_cmp_lt_f32_e32 vcc_lo, v19, v17
	s_and_b32 s2, vcc_lo, exec_lo
; %bb.400:
	s_or_b32 exec_lo, exec_lo, s4
	s_delay_alu instid0(SALU_CYCLE_1)
	s_or_not1_b32 s2, s2, exec_lo
.LBB35_401:
	s_or_b32 exec_lo, exec_lo, s0
	s_delay_alu instid0(SALU_CYCLE_1)
	s_and_b32 s2, s2, exec_lo
.LBB35_402:
	s_or_b32 exec_lo, exec_lo, s3
	s_xor_b32 s0, s2, -1
                                        ; implicit-def: $vgpr20_vgpr21
	s_delay_alu instid0(SALU_CYCLE_1) | instskip(NEXT) | instid1(SALU_CYCLE_1)
	s_and_saveexec_b32 s3, s0
	s_xor_b32 s0, exec_lo, s3
; %bb.403:
	v_lshl_add_u32 v20, v49, 3, v44
	ds_load_b64 v[20:21], v20 offset:8
; %bb.404:
	s_or_saveexec_b32 s0, s0
	s_wait_dscnt 0x0
	v_mov_b64_e32 v[22:23], v[18:19]
	s_xor_b32 exec_lo, exec_lo, s0
; %bb.405:
	v_lshl_add_u32 v20, v46, 3, v44
	ds_load_b64 v[22:23], v20 offset:8
	v_mov_b64_e32 v[20:21], v[16:17]
; %bb.406:
	s_or_b32 exec_lo, exec_lo, s0
	v_dual_add_nc_u32 v24, 1, v46 :: v_dual_add_nc_u32 v25, 1, v49
	s_mov_b32 s3, 0
	s_mov_b32 s4, exec_lo
	s_delay_alu instid0(VALU_DEP_1) | instskip(NEXT) | instid1(VALU_DEP_1)
	v_dual_cndmask_b32 v50, v46, v24, s2 :: v_dual_cndmask_b32 v51, v25, v49, s2
	v_cmpx_gt_i32_e32 0x100, v50
	s_cbranch_execz .LBB35_412
; %bb.407:
	s_delay_alu instid0(VALU_DEP_2) | instskip(SKIP_4) | instid1(SALU_CYCLE_1)
	v_cmp_gt_i32_e32 vcc_lo, 0x80, v51
	s_wait_dscnt 0x0
	v_cmp_nlt_f32_e64 s0, v22, v20
	s_mov_b32 s3, -1
	s_and_b32 s5, vcc_lo, s0
	s_and_saveexec_b32 s0, s5
	s_cbranch_execz .LBB35_411
; %bb.408:
	s_mov_b32 s3, 0
	s_mov_b32 s5, exec_lo
	v_cmpx_eq_f32_e32 v22, v20
; %bb.409:
	v_cmp_lt_f32_e32 vcc_lo, v23, v21
	s_and_b32 s3, vcc_lo, exec_lo
; %bb.410:
	s_or_b32 exec_lo, exec_lo, s5
	s_delay_alu instid0(SALU_CYCLE_1)
	s_or_not1_b32 s3, s3, exec_lo
.LBB35_411:
	s_or_b32 exec_lo, exec_lo, s0
	s_delay_alu instid0(SALU_CYCLE_1)
	s_and_b32 s3, s3, exec_lo
.LBB35_412:
	s_or_b32 exec_lo, exec_lo, s4
	s_xor_b32 s0, s3, -1
                                        ; implicit-def: $vgpr24_vgpr25
	s_delay_alu instid0(SALU_CYCLE_1) | instskip(NEXT) | instid1(SALU_CYCLE_1)
	s_and_saveexec_b32 s4, s0
	s_xor_b32 s0, exec_lo, s4
; %bb.413:
	v_lshl_add_u32 v24, v51, 3, v44
	ds_load_b64 v[24:25], v24 offset:8
; %bb.414:
	s_or_saveexec_b32 s0, s0
	s_wait_dscnt 0x0
	v_mov_b64_e32 v[26:27], v[22:23]
	s_xor_b32 exec_lo, exec_lo, s0
; %bb.415:
	v_lshl_add_u32 v24, v50, 3, v44
	ds_load_b64 v[26:27], v24 offset:8
	v_mov_b64_e32 v[24:25], v[20:21]
; %bb.416:
	s_or_b32 exec_lo, exec_lo, s0
	v_dual_add_nc_u32 v28, 1, v50 :: v_dual_add_nc_u32 v29, 1, v51
	s_mov_b32 s4, 0
	s_mov_b32 s5, exec_lo
	s_delay_alu instid0(VALU_DEP_1) | instskip(NEXT) | instid1(VALU_DEP_1)
	v_dual_cndmask_b32 v52, v50, v28, s3 :: v_dual_cndmask_b32 v53, v29, v51, s3
	v_cmpx_gt_i32_e32 0x100, v52
	s_cbranch_execz .LBB35_422
; %bb.417:
	s_delay_alu instid0(VALU_DEP_2) | instskip(SKIP_4) | instid1(SALU_CYCLE_1)
	v_cmp_gt_i32_e32 vcc_lo, 0x80, v53
	s_wait_dscnt 0x0
	v_cmp_nlt_f32_e64 s0, v26, v24
	s_mov_b32 s4, -1
	s_and_b32 s6, vcc_lo, s0
	s_and_saveexec_b32 s0, s6
	s_cbranch_execz .LBB35_421
; %bb.418:
	s_mov_b32 s4, 0
	s_mov_b32 s6, exec_lo
	v_cmpx_eq_f32_e32 v26, v24
; %bb.419:
	v_cmp_lt_f32_e32 vcc_lo, v27, v25
	s_and_b32 s4, vcc_lo, exec_lo
; %bb.420:
	s_or_b32 exec_lo, exec_lo, s6
	s_delay_alu instid0(SALU_CYCLE_1)
	s_or_not1_b32 s4, s4, exec_lo
.LBB35_421:
	s_or_b32 exec_lo, exec_lo, s0
	s_delay_alu instid0(SALU_CYCLE_1)
	s_and_b32 s4, s4, exec_lo
.LBB35_422:
	s_or_b32 exec_lo, exec_lo, s5
	s_xor_b32 s0, s4, -1
                                        ; implicit-def: $vgpr28_vgpr29
	s_delay_alu instid0(SALU_CYCLE_1) | instskip(NEXT) | instid1(SALU_CYCLE_1)
	s_and_saveexec_b32 s5, s0
	s_xor_b32 s0, exec_lo, s5
; %bb.423:
	v_lshl_add_u32 v28, v53, 3, v44
	ds_load_b64 v[28:29], v28 offset:8
; %bb.424:
	s_or_saveexec_b32 s0, s0
	s_wait_dscnt 0x0
	v_mov_b64_e32 v[30:31], v[26:27]
	s_xor_b32 exec_lo, exec_lo, s0
; %bb.425:
	v_lshl_add_u32 v28, v52, 3, v44
	ds_load_b64 v[30:31], v28 offset:8
	v_mov_b64_e32 v[28:29], v[24:25]
; %bb.426:
	s_or_b32 exec_lo, exec_lo, s0
	v_dual_add_nc_u32 v32, 1, v52 :: v_dual_add_nc_u32 v33, 1, v53
	s_mov_b32 s5, 0
	s_mov_b32 s6, exec_lo
	s_delay_alu instid0(VALU_DEP_1) | instskip(NEXT) | instid1(VALU_DEP_1)
	v_dual_cndmask_b32 v54, v52, v32, s4 :: v_dual_cndmask_b32 v55, v33, v53, s4
	v_cmpx_gt_i32_e32 0x100, v54
	s_cbranch_execz .LBB35_432
; %bb.427:
	s_delay_alu instid0(VALU_DEP_2) | instskip(SKIP_4) | instid1(SALU_CYCLE_1)
	v_cmp_gt_i32_e32 vcc_lo, 0x80, v55
	s_wait_dscnt 0x0
	v_cmp_nlt_f32_e64 s0, v30, v28
	s_mov_b32 s5, -1
	s_and_b32 s7, vcc_lo, s0
	s_and_saveexec_b32 s0, s7
	s_cbranch_execz .LBB35_431
; %bb.428:
	s_mov_b32 s5, 0
	s_mov_b32 s7, exec_lo
	v_cmpx_eq_f32_e32 v30, v28
; %bb.429:
	v_cmp_lt_f32_e32 vcc_lo, v31, v29
	s_and_b32 s5, vcc_lo, exec_lo
; %bb.430:
	s_or_b32 exec_lo, exec_lo, s7
	s_delay_alu instid0(SALU_CYCLE_1)
	s_or_not1_b32 s5, s5, exec_lo
.LBB35_431:
	s_or_b32 exec_lo, exec_lo, s0
	s_delay_alu instid0(SALU_CYCLE_1)
	s_and_b32 s5, s5, exec_lo
.LBB35_432:
	s_or_b32 exec_lo, exec_lo, s6
	s_xor_b32 s0, s5, -1
                                        ; implicit-def: $vgpr32_vgpr33
	s_delay_alu instid0(SALU_CYCLE_1) | instskip(NEXT) | instid1(SALU_CYCLE_1)
	s_and_saveexec_b32 s6, s0
	s_xor_b32 s0, exec_lo, s6
; %bb.433:
	v_lshl_add_u32 v32, v55, 3, v44
	ds_load_b64 v[32:33], v32 offset:8
; %bb.434:
	s_or_saveexec_b32 s0, s0
	s_wait_dscnt 0x0
	v_mov_b64_e32 v[34:35], v[30:31]
	s_xor_b32 exec_lo, exec_lo, s0
; %bb.435:
	v_lshl_add_u32 v32, v54, 3, v44
	ds_load_b64 v[34:35], v32 offset:8
	v_mov_b64_e32 v[32:33], v[28:29]
; %bb.436:
	s_or_b32 exec_lo, exec_lo, s0
	v_dual_add_nc_u32 v36, 1, v54 :: v_dual_add_nc_u32 v37, 1, v55
	s_mov_b32 s6, 0
	s_mov_b32 s7, exec_lo
	s_delay_alu instid0(VALU_DEP_1) | instskip(NEXT) | instid1(VALU_DEP_1)
	v_dual_cndmask_b32 v56, v54, v36, s5 :: v_dual_cndmask_b32 v57, v37, v55, s5
	v_cmpx_gt_i32_e32 0x100, v56
	s_cbranch_execz .LBB35_442
; %bb.437:
	s_delay_alu instid0(VALU_DEP_2) | instskip(SKIP_4) | instid1(SALU_CYCLE_1)
	v_cmp_gt_i32_e32 vcc_lo, 0x80, v57
	s_wait_dscnt 0x0
	v_cmp_nlt_f32_e64 s0, v34, v32
	s_mov_b32 s6, -1
	s_and_b32 s8, vcc_lo, s0
	s_and_saveexec_b32 s0, s8
	s_cbranch_execz .LBB35_441
; %bb.438:
	s_mov_b32 s6, 0
	s_mov_b32 s8, exec_lo
	v_cmpx_eq_f32_e32 v34, v32
; %bb.439:
	v_cmp_lt_f32_e32 vcc_lo, v35, v33
	s_and_b32 s6, vcc_lo, exec_lo
; %bb.440:
	s_or_b32 exec_lo, exec_lo, s8
	s_delay_alu instid0(SALU_CYCLE_1)
	s_or_not1_b32 s6, s6, exec_lo
.LBB35_441:
	s_or_b32 exec_lo, exec_lo, s0
	s_delay_alu instid0(SALU_CYCLE_1)
	s_and_b32 s6, s6, exec_lo
.LBB35_442:
	s_or_b32 exec_lo, exec_lo, s7
	s_xor_b32 s0, s6, -1
                                        ; implicit-def: $vgpr36_vgpr37
	s_delay_alu instid0(SALU_CYCLE_1) | instskip(NEXT) | instid1(SALU_CYCLE_1)
	s_and_saveexec_b32 s7, s0
	s_xor_b32 s0, exec_lo, s7
; %bb.443:
	v_lshl_add_u32 v36, v57, 3, v44
	ds_load_b64 v[36:37], v36 offset:8
; %bb.444:
	s_or_saveexec_b32 s0, s0
	s_wait_dscnt 0x0
	v_mov_b64_e32 v[40:41], v[34:35]
	s_xor_b32 exec_lo, exec_lo, s0
; %bb.445:
	v_lshl_add_u32 v36, v56, 3, v44
	ds_load_b64 v[40:41], v36 offset:8
	v_mov_b64_e32 v[36:37], v[32:33]
; %bb.446:
	s_or_b32 exec_lo, exec_lo, s0
	v_dual_add_nc_u32 v38, 1, v56 :: v_dual_add_nc_u32 v39, 1, v57
	s_mov_b32 s7, 0
	s_mov_b32 s8, exec_lo
	s_delay_alu instid0(VALU_DEP_1) | instskip(NEXT) | instid1(VALU_DEP_1)
	v_dual_cndmask_b32 v58, v56, v38, s6 :: v_dual_cndmask_b32 v59, v39, v57, s6
	v_cmpx_gt_i32_e32 0x100, v58
	s_cbranch_execz .LBB35_452
; %bb.447:
	s_delay_alu instid0(VALU_DEP_2) | instskip(SKIP_4) | instid1(SALU_CYCLE_1)
	v_cmp_gt_i32_e32 vcc_lo, 0x80, v59
	s_wait_dscnt 0x0
	v_cmp_nlt_f32_e64 s0, v40, v36
	s_mov_b32 s7, -1
	s_and_b32 s9, vcc_lo, s0
	s_and_saveexec_b32 s0, s9
	s_cbranch_execz .LBB35_451
; %bb.448:
	s_mov_b32 s7, 0
	s_mov_b32 s9, exec_lo
	v_cmpx_eq_f32_e32 v40, v36
; %bb.449:
	v_cmp_lt_f32_e32 vcc_lo, v41, v37
	s_and_b32 s7, vcc_lo, exec_lo
; %bb.450:
	s_or_b32 exec_lo, exec_lo, s9
	s_delay_alu instid0(SALU_CYCLE_1)
	s_or_not1_b32 s7, s7, exec_lo
.LBB35_451:
	s_or_b32 exec_lo, exec_lo, s0
	s_delay_alu instid0(SALU_CYCLE_1)
	s_and_b32 s7, s7, exec_lo
.LBB35_452:
	s_or_b32 exec_lo, exec_lo, s8
	s_xor_b32 s0, s7, -1
                                        ; implicit-def: $vgpr38_vgpr39
	s_delay_alu instid0(SALU_CYCLE_1) | instskip(NEXT) | instid1(SALU_CYCLE_1)
	s_and_saveexec_b32 s8, s0
	s_xor_b32 s0, exec_lo, s8
; %bb.453:
	v_lshl_add_u32 v38, v59, 3, v44
	ds_load_b64 v[38:39], v38 offset:8
; %bb.454:
	s_or_saveexec_b32 s0, s0
	s_wait_dscnt 0x0
	v_mov_b64_e32 v[42:43], v[40:41]
	s_xor_b32 exec_lo, exec_lo, s0
; %bb.455:
	v_lshl_add_u32 v38, v58, 3, v44
	ds_load_b64 v[42:43], v38 offset:8
	v_mov_b64_e32 v[38:39], v[36:37]
; %bb.456:
	s_or_b32 exec_lo, exec_lo, s0
	v_dual_add_nc_u32 v60, 1, v58 :: v_dual_add_nc_u32 v61, 1, v59
	s_mov_b32 s0, 0
	s_mov_b32 s8, exec_lo
	s_delay_alu instid0(VALU_DEP_1) | instskip(NEXT) | instid1(VALU_DEP_1)
	v_dual_cndmask_b32 v60, v58, v60, s7 :: v_dual_cndmask_b32 v61, v61, v59, s7
	v_cmpx_gt_i32_e32 0x100, v60
	s_cbranch_execz .LBB35_462
; %bb.457:
	s_delay_alu instid0(VALU_DEP_2) | instskip(SKIP_4) | instid1(SALU_CYCLE_1)
	v_cmp_gt_i32_e32 vcc_lo, 0x80, v61
	s_wait_dscnt 0x0
	v_cmp_nlt_f32_e64 s0, v42, v38
	s_mov_b32 s9, -1
	s_and_b32 s10, vcc_lo, s0
	s_and_saveexec_b32 s0, s10
	s_cbranch_execz .LBB35_461
; %bb.458:
	s_mov_b32 s9, 0
	s_mov_b32 s10, exec_lo
	v_cmpx_eq_f32_e32 v42, v38
; %bb.459:
	v_cmp_lt_f32_e32 vcc_lo, v43, v39
	s_and_b32 s9, vcc_lo, exec_lo
; %bb.460:
	s_or_b32 exec_lo, exec_lo, s10
	s_delay_alu instid0(SALU_CYCLE_1)
	s_or_not1_b32 s9, s9, exec_lo
.LBB35_461:
	s_or_b32 exec_lo, exec_lo, s0
	s_delay_alu instid0(SALU_CYCLE_1)
	s_and_b32 s0, s9, exec_lo
.LBB35_462:
	s_or_b32 exec_lo, exec_lo, s8
	v_dual_cndmask_b32 v46, v49, v46, s2 :: v_dual_cndmask_b32 v45, v48, v45, s1
	v_dual_cndmask_b32 v52, v53, v52, s4 :: v_dual_cndmask_b32 v50, v51, v50, s3
	v_dual_cndmask_b32 v37, v37, v41, s7 :: v_dual_cndmask_b32 v36, v36, v40, s7
	v_dual_cndmask_b32 v33, v33, v35, s6 :: v_dual_cndmask_b32 v35, v59, v58, s7
	v_dual_cndmask_b32 v40, v57, v56, s6 :: v_dual_cndmask_b32 v41, v55, v54, s5
	v_dual_cndmask_b32 v48, v61, v60, s0 :: v_dual_cndmask_b32 v32, v32, v34, s6
	; wave barrier
	ds_store_2addr_b64 v47, v[6:7], v[10:11] offset1:1
	ds_store_2addr_b64 v47, v[4:5], v[8:9] offset0:2 offset1:3
	v_lshl_add_u32 v4, v45, 2, v44
	v_lshl_add_u32 v5, v46, 2, v44
	;; [unrolled: 1-line block ×8, first 2 shown]
	; wave barrier
	ds_load_b32 v4, v4
	ds_load_b32 v5, v5
	;; [unrolled: 1-line block ×8, first 2 shown]
	v_dual_cndmask_b32 v23, v21, v23, s3 :: v_dual_cndmask_b32 v16, v16, v18, s2
	v_dual_cndmask_b32 v17, v17, v19, s2 :: v_dual_cndmask_b32 v14, v12, v14, s1
	;; [unrolled: 1-line block ×5, first 2 shown]
	s_wait_dscnt 0xa
	v_dual_cndmask_b32 v39, v39, v43, s0 :: v_dual_cndmask_b32 v38, v38, v42, s0
	s_clause 0x3
	global_store_b128 v[2:3], v[14:17], off
	global_store_b128 v[2:3], v[22:25], off offset:16
	global_store_b128 v[2:3], v[30:33], off offset:32
	;; [unrolled: 1-line block ×3, first 2 shown]
	s_wait_dscnt 0x4
	global_store_b128 v[0:1], v[4:7], off
	s_wait_dscnt 0x0
	global_store_b128 v[0:1], v[8:11], off offset:16
	s_sendmsg sendmsg(MSG_DEALLOC_VGPRS)
	s_endpgm
	.section	.rodata,"a",@progbits
	.p2align	6, 0x0
	.amdhsa_kernel _Z21sort_keys_values_fullILj256ELj32ELj8ELb0EN10test_utils16custom_test_typeIfEEiNS0_4lessEEvPT3_PT4_T5_
		.amdhsa_group_segment_fixed_size 16448
		.amdhsa_private_segment_fixed_size 0
		.amdhsa_kernarg_size 20
		.amdhsa_user_sgpr_count 2
		.amdhsa_user_sgpr_dispatch_ptr 0
		.amdhsa_user_sgpr_queue_ptr 0
		.amdhsa_user_sgpr_kernarg_segment_ptr 1
		.amdhsa_user_sgpr_dispatch_id 0
		.amdhsa_user_sgpr_kernarg_preload_length 0
		.amdhsa_user_sgpr_kernarg_preload_offset 0
		.amdhsa_user_sgpr_private_segment_size 0
		.amdhsa_wavefront_size32 1
		.amdhsa_uses_dynamic_stack 0
		.amdhsa_enable_private_segment 0
		.amdhsa_system_sgpr_workgroup_id_x 1
		.amdhsa_system_sgpr_workgroup_id_y 0
		.amdhsa_system_sgpr_workgroup_id_z 0
		.amdhsa_system_sgpr_workgroup_info 0
		.amdhsa_system_vgpr_workitem_id 0
		.amdhsa_next_free_vgpr 66
		.amdhsa_next_free_sgpr 14
		.amdhsa_named_barrier_count 0
		.amdhsa_reserve_vcc 1
		.amdhsa_float_round_mode_32 0
		.amdhsa_float_round_mode_16_64 0
		.amdhsa_float_denorm_mode_32 3
		.amdhsa_float_denorm_mode_16_64 3
		.amdhsa_fp16_overflow 0
		.amdhsa_memory_ordered 1
		.amdhsa_forward_progress 1
		.amdhsa_inst_pref_size 108
		.amdhsa_round_robin_scheduling 0
		.amdhsa_exception_fp_ieee_invalid_op 0
		.amdhsa_exception_fp_denorm_src 0
		.amdhsa_exception_fp_ieee_div_zero 0
		.amdhsa_exception_fp_ieee_overflow 0
		.amdhsa_exception_fp_ieee_underflow 0
		.amdhsa_exception_fp_ieee_inexact 0
		.amdhsa_exception_int_div_zero 0
	.end_amdhsa_kernel
	.section	.text._Z21sort_keys_values_fullILj256ELj32ELj8ELb0EN10test_utils16custom_test_typeIfEEiNS0_4lessEEvPT3_PT4_T5_,"axG",@progbits,_Z21sort_keys_values_fullILj256ELj32ELj8ELb0EN10test_utils16custom_test_typeIfEEiNS0_4lessEEvPT3_PT4_T5_,comdat
.Lfunc_end35:
	.size	_Z21sort_keys_values_fullILj256ELj32ELj8ELb0EN10test_utils16custom_test_typeIfEEiNS0_4lessEEvPT3_PT4_T5_, .Lfunc_end35-_Z21sort_keys_values_fullILj256ELj32ELj8ELb0EN10test_utils16custom_test_typeIfEEiNS0_4lessEEvPT3_PT4_T5_
                                        ; -- End function
	.set _Z21sort_keys_values_fullILj256ELj32ELj8ELb0EN10test_utils16custom_test_typeIfEEiNS0_4lessEEvPT3_PT4_T5_.num_vgpr, 66
	.set _Z21sort_keys_values_fullILj256ELj32ELj8ELb0EN10test_utils16custom_test_typeIfEEiNS0_4lessEEvPT3_PT4_T5_.num_agpr, 0
	.set _Z21sort_keys_values_fullILj256ELj32ELj8ELb0EN10test_utils16custom_test_typeIfEEiNS0_4lessEEvPT3_PT4_T5_.numbered_sgpr, 14
	.set _Z21sort_keys_values_fullILj256ELj32ELj8ELb0EN10test_utils16custom_test_typeIfEEiNS0_4lessEEvPT3_PT4_T5_.num_named_barrier, 0
	.set _Z21sort_keys_values_fullILj256ELj32ELj8ELb0EN10test_utils16custom_test_typeIfEEiNS0_4lessEEvPT3_PT4_T5_.private_seg_size, 0
	.set _Z21sort_keys_values_fullILj256ELj32ELj8ELb0EN10test_utils16custom_test_typeIfEEiNS0_4lessEEvPT3_PT4_T5_.uses_vcc, 1
	.set _Z21sort_keys_values_fullILj256ELj32ELj8ELb0EN10test_utils16custom_test_typeIfEEiNS0_4lessEEvPT3_PT4_T5_.uses_flat_scratch, 0
	.set _Z21sort_keys_values_fullILj256ELj32ELj8ELb0EN10test_utils16custom_test_typeIfEEiNS0_4lessEEvPT3_PT4_T5_.has_dyn_sized_stack, 0
	.set _Z21sort_keys_values_fullILj256ELj32ELj8ELb0EN10test_utils16custom_test_typeIfEEiNS0_4lessEEvPT3_PT4_T5_.has_recursion, 0
	.set _Z21sort_keys_values_fullILj256ELj32ELj8ELb0EN10test_utils16custom_test_typeIfEEiNS0_4lessEEvPT3_PT4_T5_.has_indirect_call, 0
	.section	.AMDGPU.csdata,"",@progbits
; Kernel info:
; codeLenInByte = 13700
; TotalNumSgprs: 16
; NumVgprs: 66
; ScratchSize: 0
; MemoryBound: 0
; FloatMode: 240
; IeeeMode: 1
; LDSByteSize: 16448 bytes/workgroup (compile time only)
; SGPRBlocks: 0
; VGPRBlocks: 4
; NumSGPRsForWavesPerEU: 16
; NumVGPRsForWavesPerEU: 66
; NamedBarCnt: 0
; Occupancy: 12
; WaveLimiterHint : 0
; COMPUTE_PGM_RSRC2:SCRATCH_EN: 0
; COMPUTE_PGM_RSRC2:USER_SGPR: 2
; COMPUTE_PGM_RSRC2:TRAP_HANDLER: 0
; COMPUTE_PGM_RSRC2:TGID_X_EN: 1
; COMPUTE_PGM_RSRC2:TGID_Y_EN: 0
; COMPUTE_PGM_RSRC2:TGID_Z_EN: 0
; COMPUTE_PGM_RSRC2:TIDIG_COMP_CNT: 0
	.section	.text._Z21sort_keys_values_fullILj256ELj32ELj4ELb0EN10test_utils16custom_test_typeIfEEiNS0_4lessEEvPT3_PT4_T5_,"axG",@progbits,_Z21sort_keys_values_fullILj256ELj32ELj4ELb0EN10test_utils16custom_test_typeIfEEiNS0_4lessEEvPT3_PT4_T5_,comdat
	.protected	_Z21sort_keys_values_fullILj256ELj32ELj4ELb0EN10test_utils16custom_test_typeIfEEiNS0_4lessEEvPT3_PT4_T5_ ; -- Begin function _Z21sort_keys_values_fullILj256ELj32ELj4ELb0EN10test_utils16custom_test_typeIfEEiNS0_4lessEEvPT3_PT4_T5_
	.globl	_Z21sort_keys_values_fullILj256ELj32ELj4ELb0EN10test_utils16custom_test_typeIfEEiNS0_4lessEEvPT3_PT4_T5_
	.p2align	8
	.type	_Z21sort_keys_values_fullILj256ELj32ELj4ELb0EN10test_utils16custom_test_typeIfEEiNS0_4lessEEvPT3_PT4_T5_,@function
_Z21sort_keys_values_fullILj256ELj32ELj4ELb0EN10test_utils16custom_test_typeIfEEiNS0_4lessEEvPT3_PT4_T5_: ; @_Z21sort_keys_values_fullILj256ELj32ELj4ELb0EN10test_utils16custom_test_typeIfEEiNS0_4lessEEvPT3_PT4_T5_
; %bb.0:
	s_load_b128 s[0:3], s[0:1], 0x0
	s_bfe_u32 s4, ttmp6, 0x4000c
	s_and_b32 s5, ttmp6, 15
	s_add_co_i32 s4, s4, 1
	s_getreg_b32 s6, hwreg(HW_REG_IB_STS2, 6, 4)
	s_mul_i32 s4, ttmp9, s4
	s_mov_b32 s9, 0
	s_add_co_i32 s5, s5, s4
	s_cmp_eq_u32 s6, 0
	v_dual_mov_b32 v7, 0 :: v_dual_lshlrev_b32 v6, 5, v0
	s_cselect_b32 s4, ttmp9, s5
	v_mbcnt_lo_u32_b32 v1, -1, 0
	s_lshl_b32 s8, s4, 10
	s_delay_alu instid0(VALU_DEP_2) | instskip(SKIP_1) | instid1(VALU_DEP_2)
	v_dual_mov_b32 v9, v7 :: v_dual_lshlrev_b32 v8, 4, v0
	s_lshl_b64 s[4:5], s[8:9], 3
	v_dual_lshrrev_b32 v10, 5, v0 :: v_dual_lshlrev_b32 v25, 2, v1
	v_mov_b32_e32 v16, v7
	s_wait_kmcnt 0x0
	s_add_nc_u64 s[10:11], s[0:1], s[4:5]
	s_lshl_b64 s[0:1], s[8:9], 2
	s_clause 0x1
	global_load_b128 v[12:15], v6, s[10:11]
	global_load_b128 v[18:21], v6, s[10:11] offset:16
	s_add_nc_u64 s[12:13], s[2:3], s[0:1]
	global_load_b128 v[2:5], v0, s[12:13] scale_offset
	s_wait_xcnt 0x0
	v_lshlrev_b32_e32 v0, 5, v1
	; wave barrier
	s_delay_alu instid0(VALU_DEP_1)
	v_mad_u32_u24 v26, 0x408, v10, v0
	s_wait_loadcnt 0x2
	v_cmp_neq_f32_e32 vcc_lo, v14, v12
	v_cmp_nlt_f32_e64 s0, v15, v13
	s_wait_loadcnt 0x1
	v_cmp_neq_f32_e64 s1, v20, v18
	v_cmp_nlt_f32_e64 s2, v21, v19
	v_cmp_nlt_f32_e64 s3, v14, v12
	;; [unrolled: 1-line block ×3, first 2 shown]
	s_or_b32 s0, vcc_lo, s0
	s_or_b32 s1, s1, s2
	s_and_b32 vcc_lo, s3, s0
	s_and_b32 s0, s4, s1
	v_dual_cndmask_b32 v11, v13, v15 :: v_dual_cndmask_b32 v22, v12, v14
	v_dual_cndmask_b32 v17, v21, v19, s0 :: v_dual_cndmask_b32 v23, v20, v18, s0
	v_dual_cndmask_b32 v0, v15, v13 :: v_dual_cndmask_b32 v1, v14, v12
	v_dual_cndmask_b32 v12, v19, v21, s0 :: v_dual_cndmask_b32 v13, v18, v20, s0
	s_delay_alu instid0(VALU_DEP_3) | instskip(NEXT) | instid1(VALU_DEP_4)
	v_cmp_nlt_f32_e64 s1, v17, v11
	v_cmp_neq_f32_e64 s2, v23, v22
	v_cmp_nlt_f32_e64 s3, v23, v22
	s_or_b32 s1, s2, s1
	s_delay_alu instid0(SALU_CYCLE_1) | instskip(NEXT) | instid1(SALU_CYCLE_1)
	s_and_b32 s3, s3, s1
	v_dual_cndmask_b32 v14, v17, v11, s3 :: v_dual_cndmask_b32 v18, v23, v22, s3
	v_dual_cndmask_b32 v20, v22, v23, s3 :: v_dual_cndmask_b32 v11, v11, v17, s3
	v_and_b32_e32 v17, 0x78, v25
	s_delay_alu instid0(VALU_DEP_3) | instskip(NEXT) | instid1(VALU_DEP_4)
	v_cmp_nlt_f32_e64 s1, v14, v0
	v_cmp_neq_f32_e64 s2, v18, v1
	s_delay_alu instid0(VALU_DEP_4)
	v_cmp_neq_f32_e64 s4, v13, v20
	v_cmp_nlt_f32_e64 s5, v12, v11
	v_cmp_nlt_f32_e64 s6, v18, v1
	;; [unrolled: 1-line block ×3, first 2 shown]
	s_or_b32 s1, s2, s1
	s_or_b32 s2, s4, s5
	s_and_b32 s1, s6, s1
	s_and_b32 s2, s7, s2
	s_delay_alu instid0(SALU_CYCLE_1) | instskip(SKIP_3) | instid1(VALU_DEP_3)
	v_dual_cndmask_b32 v22, v0, v14, s1 :: v_dual_cndmask_b32 v19, v11, v12, s2
	v_dual_cndmask_b32 v24, v1, v18, s1 :: v_dual_cndmask_b32 v23, v12, v11, s2
	v_dual_cndmask_b32 v28, v13, v20, s2 :: v_dual_bitop2_b32 v27, 4, v17 bitop3:0x54
	v_dual_cndmask_b32 v15, v14, v0, s1 :: v_dual_lshlrev_b32 v0, 3, v17
	v_cmp_nlt_f32_e64 s5, v23, v22
	s_delay_alu instid0(VALU_DEP_3) | instskip(SKIP_1) | instid1(VALU_DEP_4)
	v_cmp_neq_f32_e64 s4, v28, v24
	v_cmp_nlt_f32_e64 s6, v28, v24
	v_mad_u32_u24 v11, 0x408, v10, v0
	s_or_b32 s4, s4, s5
	s_delay_alu instid0(SALU_CYCLE_1) | instskip(NEXT) | instid1(SALU_CYCLE_1)
	s_and_b32 s4, s6, s4
	v_dual_cndmask_b32 v21, v23, v22, s4 :: v_dual_bitop2_b32 v12, 4, v25 bitop3:0x40
	v_dual_sub_nc_u32 v14, v27, v17 :: v_dual_cndmask_b32 v23, v22, v23, s4
	v_cndmask_b32_e64 v22, v24, v28, s4
	s_mov_b32 s6, exec_lo
	s_delay_alu instid0(VALU_DEP_2)
	v_dual_cndmask_b32 v14, v18, v1, s1 :: v_dual_min_i32 v0, v12, v14
	v_cndmask_b32_e64 v18, v20, v13, s2
	v_cndmask_b32_e64 v20, v28, v24, s4
	ds_store_2addr_b64 v26, v[14:15], v[20:21] offset1:1
	ds_store_2addr_b64 v26, v[22:23], v[18:19] offset0:2 offset1:3
	; wave barrier
	v_cmpx_lt_i32_e32 0, v0
	s_cbranch_execz .LBB36_8
; %bb.1:
	v_lshl_add_u32 v1, v12, 3, v11
	v_mov_b32_e32 v16, v7
                                        ; implicit-def: $sgpr7
	s_branch .LBB36_4
.LBB36_2:                               ;   in Loop: Header=BB36_4 Depth=1
	s_or_b32 exec_lo, exec_lo, s15
	s_delay_alu instid0(SALU_CYCLE_1) | instskip(SKIP_1) | instid1(SALU_CYCLE_1)
	s_and_not1_b32 s5, s7, exec_lo
	s_and_b32 s7, s14, exec_lo
	s_or_b32 s7, s5, s7
.LBB36_3:                               ;   in Loop: Header=BB36_4 Depth=1
	s_or_b32 exec_lo, exec_lo, s8
	v_dual_add_nc_u32 v14, 1, v13 :: v_dual_cndmask_b32 v0, v0, v13, s7
	s_delay_alu instid0(VALU_DEP_1) | instskip(NEXT) | instid1(VALU_DEP_1)
	v_cndmask_b32_e64 v16, v14, v16, s7
	v_cmp_ge_i32_e64 s5, v16, v0
	s_or_b32 s9, s5, s9
	s_delay_alu instid0(SALU_CYCLE_1)
	s_and_not1_b32 exec_lo, exec_lo, s9
	s_cbranch_execz .LBB36_7
.LBB36_4:                               ; =>This Inner Loop Header: Depth=1
	s_delay_alu instid0(VALU_DEP_1) | instskip(SKIP_2) | instid1(VALU_DEP_1)
	v_sub_nc_u32_e32 v13, v0, v16
	s_or_b32 s7, s7, exec_lo
	s_mov_b32 s8, exec_lo
	v_lshrrev_b32_e32 v13, 1, v13
	s_delay_alu instid0(VALU_DEP_1) | instskip(NEXT) | instid1(VALU_DEP_1)
	v_add_nc_u32_e32 v13, v13, v16
	v_not_b32_e32 v15, v13
	v_lshl_add_u32 v14, v13, 3, v11
	s_delay_alu instid0(VALU_DEP_2)
	v_lshl_add_u32 v15, v15, 3, v1
	ds_load_b32 v18, v14
	ds_load_b32 v19, v15 offset:32
	s_wait_dscnt 0x0
	v_cmpx_nlt_f32_e32 v19, v18
	s_cbranch_execz .LBB36_3
; %bb.5:                                ;   in Loop: Header=BB36_4 Depth=1
	s_mov_b32 s14, 0
	s_mov_b32 s15, exec_lo
	v_cmpx_eq_f32_e32 v19, v18
	s_cbranch_execz .LBB36_2
; %bb.6:                                ;   in Loop: Header=BB36_4 Depth=1
	ds_load_b32 v15, v15 offset:36
	ds_load_b32 v14, v14 offset:4
	s_wait_dscnt 0x0
	v_cmp_lt_f32_e64 s5, v15, v14
	s_and_b32 s14, s5, exec_lo
	s_branch .LBB36_2
.LBB36_7:
	s_or_b32 exec_lo, exec_lo, s9
.LBB36_8:
	s_delay_alu instid0(SALU_CYCLE_1) | instskip(SKIP_4) | instid1(VALU_DEP_3)
	s_or_b32 exec_lo, exec_lo, s6
	v_add_nc_u64_e32 v[0:1], s[12:13], v[8:9]
	v_dual_add_nc_u32 v8, v17, v12 :: v_dual_add_nc_u32 v12, v27, v12
	v_mul_u32_u24_e32 v24, 0x408, v10
	v_lshl_add_u32 v14, v16, 3, v11
	v_dual_add_nc_u32 v29, 8, v17 :: v_dual_sub_nc_u32 v8, v8, v16
	s_delay_alu instid0(VALU_DEP_4) | instskip(SKIP_1) | instid1(VALU_DEP_3)
	v_sub_nc_u32_e32 v28, v12, v16
	v_add_nc_u64_e32 v[6:7], s[10:11], v[6:7]
	v_lshl_add_u32 v18, v8, 3, v24
	s_delay_alu instid0(VALU_DEP_3) | instskip(SKIP_3) | instid1(SALU_CYCLE_1)
	v_cmp_le_i32_e64 s5, v29, v28
	ds_load_b64 v[8:9], v14
	ds_load_b64 v[10:11], v18 offset:32
	s_and_saveexec_b32 s6, s5
	s_xor_b32 s5, exec_lo, s6
	s_delay_alu instid0(SALU_CYCLE_1)
	s_or_saveexec_b32 s8, s5
	s_mov_b32 s7, 0
	s_xor_b32 exec_lo, exec_lo, s8
	s_cbranch_execz .LBB36_14
; %bb.9:
	v_cmp_gt_i32_e64 s5, 4, v16
	s_wait_dscnt 0x0
	v_cmp_nlt_f32_e64 s6, v10, v8
	s_and_b32 s7, s5, s6
	s_mov_b32 s5, -1
	s_and_saveexec_b32 s6, s7
	s_cbranch_execz .LBB36_13
; %bb.10:
	s_mov_b32 s7, 0
	s_mov_b32 s9, exec_lo
	v_cmpx_eq_f32_e32 v10, v8
; %bb.11:
	v_cmp_lt_f32_e64 s5, v11, v9
	s_and_b32 s7, s5, exec_lo
; %bb.12:
	s_or_b32 exec_lo, exec_lo, s9
	s_delay_alu instid0(SALU_CYCLE_1)
	s_or_not1_b32 s5, s7, exec_lo
.LBB36_13:
	s_or_b32 exec_lo, exec_lo, s6
	s_delay_alu instid0(SALU_CYCLE_1)
	s_and_b32 s7, s5, exec_lo
.LBB36_14:
	s_or_b32 exec_lo, exec_lo, s8
	s_xor_b32 s5, s7, -1
                                        ; implicit-def: $vgpr12_vgpr13
	s_delay_alu instid0(SALU_CYCLE_1) | instskip(NEXT) | instid1(SALU_CYCLE_1)
	s_and_saveexec_b32 s6, s5
	s_xor_b32 s5, exec_lo, s6
; %bb.15:
	ds_load_b64 v[12:13], v14 offset:8
                                        ; implicit-def: $vgpr18
; %bb.16:
	s_or_saveexec_b32 s5, s5
	s_wait_dscnt 0x0
	v_mov_b64_e32 v[14:15], v[10:11]
	s_xor_b32 exec_lo, exec_lo, s5
; %bb.17:
	ds_load_b64 v[14:15], v18 offset:40
	v_mov_b64_e32 v[12:13], v[8:9]
; %bb.18:
	s_or_b32 exec_lo, exec_lo, s5
	v_dual_add_nc_u32 v30, v16, v17 :: v_dual_add_nc_u32 v16, 1, v28
	s_mov_b32 s8, 0
	s_mov_b32 s9, exec_lo
	s_delay_alu instid0(VALU_DEP_1) | instskip(NEXT) | instid1(VALU_DEP_1)
	v_dual_add_nc_u32 v17, 1, v30 :: v_dual_cndmask_b32 v31, v28, v16, s7
	v_cndmask_b32_e64 v32, v17, v30, s7
	s_delay_alu instid0(VALU_DEP_2)
	v_cmpx_lt_i32_e64 v31, v29
	s_cbranch_execz .LBB36_24
; %bb.19:
	s_delay_alu instid0(VALU_DEP_2)
	v_cmp_lt_i32_e64 s5, v32, v27
	s_wait_dscnt 0x0
	v_cmp_nlt_f32_e64 s6, v14, v12
	s_and_b32 s8, s5, s6
	s_mov_b32 s5, -1
	s_and_saveexec_b32 s6, s8
	s_cbranch_execz .LBB36_23
; %bb.20:
	s_mov_b32 s8, 0
	s_mov_b32 s10, exec_lo
	v_cmpx_eq_f32_e32 v14, v12
; %bb.21:
	v_cmp_lt_f32_e64 s5, v15, v13
	s_and_b32 s8, s5, exec_lo
; %bb.22:
	s_or_b32 exec_lo, exec_lo, s10
	s_delay_alu instid0(SALU_CYCLE_1)
	s_or_not1_b32 s5, s8, exec_lo
.LBB36_23:
	s_or_b32 exec_lo, exec_lo, s6
	s_delay_alu instid0(SALU_CYCLE_1)
	s_and_b32 s8, s5, exec_lo
.LBB36_24:
	s_or_b32 exec_lo, exec_lo, s9
	s_xor_b32 s5, s8, -1
                                        ; implicit-def: $vgpr16_vgpr17
	s_delay_alu instid0(SALU_CYCLE_1) | instskip(NEXT) | instid1(SALU_CYCLE_1)
	s_and_saveexec_b32 s6, s5
	s_xor_b32 s5, exec_lo, s6
; %bb.25:
	v_lshl_add_u32 v16, v32, 3, v24
	ds_load_b64 v[16:17], v16 offset:8
; %bb.26:
	s_or_saveexec_b32 s5, s5
	s_wait_dscnt 0x0
	v_mov_b64_e32 v[18:19], v[14:15]
	s_xor_b32 exec_lo, exec_lo, s5
; %bb.27:
	v_lshl_add_u32 v16, v31, 3, v24
	ds_load_b64 v[18:19], v16 offset:8
	v_mov_b64_e32 v[16:17], v[12:13]
; %bb.28:
	s_or_b32 exec_lo, exec_lo, s5
	v_add_nc_u32_e32 v20, 1, v31
	s_delay_alu instid0(VALU_DEP_1) | instskip(SKIP_1) | instid1(VALU_DEP_2)
	v_cndmask_b32_e64 v33, v31, v20, s8
	v_add_nc_u32_e32 v20, 1, v32
	v_cmp_ge_i32_e64 s5, v33, v29
	s_and_saveexec_b32 s6, s5
	s_delay_alu instid0(SALU_CYCLE_1) | instskip(NEXT) | instid1(SALU_CYCLE_1)
	s_xor_b32 s5, exec_lo, s6
	s_or_saveexec_b32 s10, s5
	v_cndmask_b32_e64 v34, v20, v32, s8
	s_mov_b32 s9, 0
	s_xor_b32 exec_lo, exec_lo, s10
	s_cbranch_execz .LBB36_34
; %bb.29:
	s_delay_alu instid0(VALU_DEP_1)
	v_cmp_lt_i32_e64 s5, v34, v27
	s_wait_dscnt 0x0
	v_cmp_nlt_f32_e64 s6, v18, v16
	s_and_b32 s9, s5, s6
	s_mov_b32 s5, -1
	s_and_saveexec_b32 s6, s9
	s_cbranch_execz .LBB36_33
; %bb.30:
	s_mov_b32 s9, 0
	s_mov_b32 s11, exec_lo
	v_cmpx_eq_f32_e32 v18, v16
; %bb.31:
	v_cmp_lt_f32_e64 s5, v19, v17
	s_and_b32 s9, s5, exec_lo
; %bb.32:
	s_or_b32 exec_lo, exec_lo, s11
	s_delay_alu instid0(SALU_CYCLE_1)
	s_or_not1_b32 s5, s9, exec_lo
.LBB36_33:
	s_or_b32 exec_lo, exec_lo, s6
	s_delay_alu instid0(SALU_CYCLE_1)
	s_and_b32 s9, s5, exec_lo
.LBB36_34:
	s_or_b32 exec_lo, exec_lo, s10
	s_xor_b32 s5, s9, -1
                                        ; implicit-def: $vgpr20_vgpr21
	s_delay_alu instid0(SALU_CYCLE_1) | instskip(NEXT) | instid1(SALU_CYCLE_1)
	s_and_saveexec_b32 s6, s5
	s_xor_b32 s5, exec_lo, s6
; %bb.35:
	v_lshl_add_u32 v20, v34, 3, v24
	ds_load_b64 v[20:21], v20 offset:8
; %bb.36:
	s_or_saveexec_b32 s5, s5
	s_wait_dscnt 0x0
	v_mov_b64_e32 v[22:23], v[18:19]
	s_xor_b32 exec_lo, exec_lo, s5
; %bb.37:
	v_lshl_add_u32 v20, v33, 3, v24
	ds_load_b64 v[22:23], v20 offset:8
	v_mov_b64_e32 v[20:21], v[16:17]
; %bb.38:
	s_or_b32 exec_lo, exec_lo, s5
	v_dual_add_nc_u32 v35, 1, v33 :: v_dual_add_nc_u32 v36, 1, v34
	s_mov_b32 s6, 0
	s_mov_b32 s10, exec_lo
	s_delay_alu instid0(VALU_DEP_1) | instskip(NEXT) | instid1(VALU_DEP_1)
	v_dual_cndmask_b32 v35, v33, v35, s9 :: v_dual_cndmask_b32 v36, v36, v34, s9
	v_cmpx_lt_i32_e64 v35, v29
	s_cbranch_execz .LBB36_44
; %bb.39:
	s_delay_alu instid0(VALU_DEP_2)
	v_cmp_lt_i32_e64 s5, v36, v27
	s_wait_dscnt 0x0
	v_cmp_nlt_f32_e64 s6, v22, v20
	s_and_b32 s11, s5, s6
	s_mov_b32 s5, -1
	s_and_saveexec_b32 s6, s11
	s_cbranch_execz .LBB36_43
; %bb.40:
	s_mov_b32 s11, 0
	s_mov_b32 s12, exec_lo
	v_cmpx_eq_f32_e32 v22, v20
; %bb.41:
	v_cmp_lt_f32_e64 s5, v23, v21
	s_and_b32 s11, s5, exec_lo
; %bb.42:
	s_or_b32 exec_lo, exec_lo, s12
	s_delay_alu instid0(SALU_CYCLE_1)
	s_or_not1_b32 s5, s11, exec_lo
.LBB36_43:
	s_or_b32 exec_lo, exec_lo, s6
	s_delay_alu instid0(SALU_CYCLE_1)
	s_and_b32 s6, s5, exec_lo
.LBB36_44:
	s_or_b32 exec_lo, exec_lo, s10
	s_wait_loadcnt 0x0
	v_dual_cndmask_b32 v27, v2, v3, vcc_lo :: v_dual_cndmask_b32 v29, v5, v4, s0
	v_dual_cndmask_b32 v2, v3, v2, vcc_lo :: v_dual_cndmask_b32 v3, v4, v5, s0
	v_dual_cndmask_b32 v18, v16, v18, s9 :: v_dual_cndmask_b32 v16, v34, v33, s9
	s_delay_alu instid0(VALU_DEP_3) | instskip(SKIP_1) | instid1(VALU_DEP_2)
	v_dual_cndmask_b32 v4, v29, v27, s3 :: v_dual_cndmask_b32 v5, v27, v29, s3
	v_lshl_add_u32 v27, v25, 2, v24
	; wave barrier
	v_dual_cndmask_b32 v29, v2, v4, s1 :: v_dual_cndmask_b32 v33, v3, v5, s2
	v_cndmask_b32_e64 v31, v32, v31, s8
	v_dual_cndmask_b32 v2, v4, v2, s1 :: v_dual_cndmask_b32 v5, v5, v3, s2
	s_delay_alu instid0(VALU_DEP_3)
	v_dual_cndmask_b32 v28, v30, v28, s7 :: v_dual_cndmask_b32 v3, v33, v29, s4
	v_cndmask_b32_e64 v4, v29, v33, s4
	v_dual_cndmask_b32 v19, v17, v19, s9 :: v_dual_cndmask_b32 v14, v12, v14, s8
	v_dual_cndmask_b32 v15, v13, v15, s8 :: v_dual_bitop2_b32 v12, 12, v25 bitop3:0x40
	ds_store_2addr_b64 v27, v[2:3], v[4:5] offset1:1
	v_lshl_add_u32 v4, v16, 2, v24
	v_and_b32_e32 v16, 0x70, v25
	v_cndmask_b32_e64 v29, v36, v35, s6
	v_lshl_add_u32 v2, v28, 2, v24
	v_lshl_add_u32 v3, v31, 2, v24
	s_delay_alu instid0(VALU_DEP_4) | instskip(NEXT) | instid1(VALU_DEP_4)
	v_or_b32_e32 v28, 8, v16
	v_lshl_add_u32 v5, v29, 2, v24
	; wave barrier
	ds_load_b32 v2, v2
	ds_load_b32 v3, v3
	ds_load_b32 v4, v4
	ds_load_b32 v5, v5
	s_wait_dscnt 0x5
	v_dual_cndmask_b32 v10, v8, v10, s7 :: v_dual_cndmask_b32 v21, v21, v23, s6
	v_dual_sub_nc_u32 v13, v28, v16 :: v_dual_cndmask_b32 v11, v9, v11, s7
	v_sub_nc_u32_e64 v17, v12, 8 clamp
	v_lshl_add_u32 v8, v16, 3, v24
	v_cndmask_b32_e64 v20, v20, v22, s6
	s_delay_alu instid0(VALU_DEP_4)
	v_min_i32_e32 v9, v12, v13
	s_mov_b32 s0, exec_lo
	; wave barrier
	ds_store_2addr_b64 v26, v[10:11], v[14:15] offset1:1
	ds_store_2addr_b64 v26, v[18:19], v[20:21] offset0:2 offset1:3
	; wave barrier
	v_cmpx_lt_i32_e64 v17, v9
	s_cbranch_execz .LBB36_52
; %bb.45:
	v_lshl_add_u32 v10, v12, 3, v8
	s_mov_b32 s1, 0
                                        ; implicit-def: $sgpr2
	s_branch .LBB36_48
.LBB36_46:                              ;   in Loop: Header=BB36_48 Depth=1
	s_or_b32 exec_lo, exec_lo, s5
	s_delay_alu instid0(SALU_CYCLE_1) | instskip(SKIP_1) | instid1(SALU_CYCLE_1)
	s_and_not1_b32 s2, s2, exec_lo
	s_and_b32 s4, s4, exec_lo
	s_or_b32 s2, s2, s4
.LBB36_47:                              ;   in Loop: Header=BB36_48 Depth=1
	s_or_b32 exec_lo, exec_lo, s3
	v_dual_add_nc_u32 v13, 1, v11 :: v_dual_cndmask_b32 v9, v9, v11, s2
	s_delay_alu instid0(VALU_DEP_1) | instskip(NEXT) | instid1(VALU_DEP_1)
	v_cndmask_b32_e64 v17, v13, v17, s2
	v_cmp_ge_i32_e32 vcc_lo, v17, v9
	s_or_b32 s1, vcc_lo, s1
	s_delay_alu instid0(SALU_CYCLE_1)
	s_and_not1_b32 exec_lo, exec_lo, s1
	s_cbranch_execz .LBB36_51
.LBB36_48:                              ; =>This Inner Loop Header: Depth=1
	v_sub_nc_u32_e32 v11, v9, v17
	s_or_b32 s2, s2, exec_lo
	s_mov_b32 s3, exec_lo
	s_delay_alu instid0(VALU_DEP_1) | instskip(NEXT) | instid1(VALU_DEP_1)
	v_lshrrev_b32_e32 v11, 1, v11
	v_add_nc_u32_e32 v11, v11, v17
	s_delay_alu instid0(VALU_DEP_1) | instskip(SKIP_1) | instid1(VALU_DEP_2)
	v_not_b32_e32 v14, v11
	v_lshl_add_u32 v13, v11, 3, v8
	v_lshl_add_u32 v14, v14, 3, v10
	ds_load_b32 v15, v13
	ds_load_b32 v18, v14 offset:64
	s_wait_dscnt 0x0
	v_cmpx_nlt_f32_e32 v18, v15
	s_cbranch_execz .LBB36_47
; %bb.49:                               ;   in Loop: Header=BB36_48 Depth=1
	s_mov_b32 s4, 0
	s_mov_b32 s5, exec_lo
	v_cmpx_eq_f32_e32 v18, v15
	s_cbranch_execz .LBB36_46
; %bb.50:                               ;   in Loop: Header=BB36_48 Depth=1
	ds_load_b32 v14, v14 offset:68
	ds_load_b32 v13, v13 offset:4
	s_wait_dscnt 0x0
	v_cmp_lt_f32_e32 vcc_lo, v14, v13
	s_and_b32 s4, vcc_lo, exec_lo
	s_branch .LBB36_46
.LBB36_51:
	s_or_b32 exec_lo, exec_lo, s1
.LBB36_52:
	s_delay_alu instid0(SALU_CYCLE_1) | instskip(SKIP_4) | instid1(VALU_DEP_3)
	s_or_b32 exec_lo, exec_lo, s0
	v_add_nc_u32_e32 v9, v16, v12
	v_lshl_add_u32 v14, v17, 3, v8
	s_mov_b32 s0, exec_lo
	v_add_nc_u32_e32 v12, v28, v12
	v_dual_add_nc_u32 v30, 16, v16 :: v_dual_sub_nc_u32 v9, v9, v17
	s_delay_alu instid0(VALU_DEP_2) | instskip(NEXT) | instid1(VALU_DEP_2)
	v_sub_nc_u32_e32 v29, v12, v17
	v_lshl_add_u32 v18, v9, 3, v24
	ds_load_b64 v[8:9], v14
	ds_load_b64 v[10:11], v18 offset:64
	v_cmpx_le_i32_e64 v30, v29
	s_xor_b32 s0, exec_lo, s0
	s_delay_alu instid0(SALU_CYCLE_1)
	s_or_saveexec_b32 s2, s0
	s_mov_b32 s1, 0
	s_xor_b32 exec_lo, exec_lo, s2
	s_cbranch_execz .LBB36_58
; %bb.53:
	v_cmp_gt_i32_e32 vcc_lo, 8, v17
	s_wait_dscnt 0x0
	v_cmp_nlt_f32_e64 s0, v10, v8
	s_mov_b32 s1, -1
	s_and_b32 s3, vcc_lo, s0
	s_delay_alu instid0(SALU_CYCLE_1)
	s_and_saveexec_b32 s0, s3
	s_cbranch_execz .LBB36_57
; %bb.54:
	s_mov_b32 s1, 0
	s_mov_b32 s3, exec_lo
	v_cmpx_eq_f32_e32 v10, v8
; %bb.55:
	v_cmp_lt_f32_e32 vcc_lo, v11, v9
	s_and_b32 s1, vcc_lo, exec_lo
; %bb.56:
	s_or_b32 exec_lo, exec_lo, s3
	s_delay_alu instid0(SALU_CYCLE_1)
	s_or_not1_b32 s1, s1, exec_lo
.LBB36_57:
	s_or_b32 exec_lo, exec_lo, s0
	s_delay_alu instid0(SALU_CYCLE_1)
	s_and_b32 s1, s1, exec_lo
.LBB36_58:
	s_or_b32 exec_lo, exec_lo, s2
	s_xor_b32 s0, s1, -1
                                        ; implicit-def: $vgpr12_vgpr13
	s_delay_alu instid0(SALU_CYCLE_1) | instskip(NEXT) | instid1(SALU_CYCLE_1)
	s_and_saveexec_b32 s2, s0
	s_xor_b32 s0, exec_lo, s2
; %bb.59:
	ds_load_b64 v[12:13], v14 offset:8
                                        ; implicit-def: $vgpr18
; %bb.60:
	s_or_saveexec_b32 s0, s0
	s_wait_dscnt 0x0
	v_mov_b64_e32 v[14:15], v[10:11]
	s_xor_b32 exec_lo, exec_lo, s0
; %bb.61:
	ds_load_b64 v[14:15], v18 offset:72
	v_mov_b64_e32 v[12:13], v[8:9]
; %bb.62:
	s_or_b32 exec_lo, exec_lo, s0
	v_dual_add_nc_u32 v31, v17, v16 :: v_dual_add_nc_u32 v16, 1, v29
	s_mov_b32 s2, 0
	s_mov_b32 s3, exec_lo
	s_delay_alu instid0(VALU_DEP_1) | instskip(NEXT) | instid1(VALU_DEP_1)
	v_dual_add_nc_u32 v17, 1, v31 :: v_dual_cndmask_b32 v32, v29, v16, s1
	v_cndmask_b32_e64 v33, v17, v31, s1
	s_delay_alu instid0(VALU_DEP_2)
	v_cmpx_lt_i32_e64 v32, v30
	s_cbranch_execz .LBB36_68
; %bb.63:
	s_delay_alu instid0(VALU_DEP_2) | instskip(SKIP_4) | instid1(SALU_CYCLE_1)
	v_cmp_lt_i32_e32 vcc_lo, v33, v28
	s_wait_dscnt 0x0
	v_cmp_nlt_f32_e64 s0, v14, v12
	s_mov_b32 s2, -1
	s_and_b32 s4, vcc_lo, s0
	s_and_saveexec_b32 s0, s4
	s_cbranch_execz .LBB36_67
; %bb.64:
	s_mov_b32 s2, 0
	s_mov_b32 s4, exec_lo
	v_cmpx_eq_f32_e32 v14, v12
; %bb.65:
	v_cmp_lt_f32_e32 vcc_lo, v15, v13
	s_and_b32 s2, vcc_lo, exec_lo
; %bb.66:
	s_or_b32 exec_lo, exec_lo, s4
	s_delay_alu instid0(SALU_CYCLE_1)
	s_or_not1_b32 s2, s2, exec_lo
.LBB36_67:
	s_or_b32 exec_lo, exec_lo, s0
	s_delay_alu instid0(SALU_CYCLE_1)
	s_and_b32 s2, s2, exec_lo
.LBB36_68:
	s_or_b32 exec_lo, exec_lo, s3
	s_xor_b32 s0, s2, -1
                                        ; implicit-def: $vgpr16_vgpr17
	s_delay_alu instid0(SALU_CYCLE_1) | instskip(NEXT) | instid1(SALU_CYCLE_1)
	s_and_saveexec_b32 s3, s0
	s_xor_b32 s0, exec_lo, s3
; %bb.69:
	v_lshl_add_u32 v16, v33, 3, v24
	ds_load_b64 v[16:17], v16 offset:8
; %bb.70:
	s_or_saveexec_b32 s0, s0
	s_wait_dscnt 0x0
	v_mov_b64_e32 v[18:19], v[14:15]
	s_xor_b32 exec_lo, exec_lo, s0
; %bb.71:
	v_lshl_add_u32 v16, v32, 3, v24
	ds_load_b64 v[18:19], v16 offset:8
	v_mov_b64_e32 v[16:17], v[12:13]
; %bb.72:
	s_or_b32 exec_lo, exec_lo, s0
	v_add_nc_u32_e32 v20, 1, v32
	s_mov_b32 s0, exec_lo
	s_delay_alu instid0(VALU_DEP_1) | instskip(NEXT) | instid1(VALU_DEP_1)
	v_dual_cndmask_b32 v34, v32, v20, s2 :: v_dual_add_nc_u32 v20, 1, v33
	v_cmpx_ge_i32_e64 v34, v30
	s_xor_b32 s0, exec_lo, s0
	s_delay_alu instid0(SALU_CYCLE_1) | instskip(NEXT) | instid1(VALU_DEP_2)
	s_or_saveexec_b32 s4, s0
	v_cndmask_b32_e64 v35, v20, v33, s2
	s_mov_b32 s3, 0
	s_xor_b32 exec_lo, exec_lo, s4
	s_cbranch_execz .LBB36_78
; %bb.73:
	s_delay_alu instid0(VALU_DEP_1) | instskip(SKIP_4) | instid1(SALU_CYCLE_1)
	v_cmp_lt_i32_e32 vcc_lo, v35, v28
	s_wait_dscnt 0x0
	v_cmp_nlt_f32_e64 s0, v18, v16
	s_mov_b32 s3, -1
	s_and_b32 s5, vcc_lo, s0
	s_and_saveexec_b32 s0, s5
	s_cbranch_execz .LBB36_77
; %bb.74:
	s_mov_b32 s3, 0
	s_mov_b32 s5, exec_lo
	v_cmpx_eq_f32_e32 v18, v16
; %bb.75:
	v_cmp_lt_f32_e32 vcc_lo, v19, v17
	s_and_b32 s3, vcc_lo, exec_lo
; %bb.76:
	s_or_b32 exec_lo, exec_lo, s5
	s_delay_alu instid0(SALU_CYCLE_1)
	s_or_not1_b32 s3, s3, exec_lo
.LBB36_77:
	s_or_b32 exec_lo, exec_lo, s0
	s_delay_alu instid0(SALU_CYCLE_1)
	s_and_b32 s3, s3, exec_lo
.LBB36_78:
	s_or_b32 exec_lo, exec_lo, s4
	s_xor_b32 s0, s3, -1
                                        ; implicit-def: $vgpr20_vgpr21
	s_delay_alu instid0(SALU_CYCLE_1) | instskip(NEXT) | instid1(SALU_CYCLE_1)
	s_and_saveexec_b32 s4, s0
	s_xor_b32 s0, exec_lo, s4
; %bb.79:
	v_lshl_add_u32 v20, v35, 3, v24
	ds_load_b64 v[20:21], v20 offset:8
; %bb.80:
	s_or_saveexec_b32 s0, s0
	s_wait_dscnt 0x0
	v_mov_b64_e32 v[22:23], v[18:19]
	s_xor_b32 exec_lo, exec_lo, s0
; %bb.81:
	v_lshl_add_u32 v20, v34, 3, v24
	ds_load_b64 v[22:23], v20 offset:8
	v_mov_b64_e32 v[20:21], v[16:17]
; %bb.82:
	s_or_b32 exec_lo, exec_lo, s0
	v_dual_add_nc_u32 v36, 1, v34 :: v_dual_add_nc_u32 v37, 1, v35
	s_mov_b32 s0, 0
	s_mov_b32 s4, exec_lo
	s_delay_alu instid0(VALU_DEP_1) | instskip(NEXT) | instid1(VALU_DEP_1)
	v_dual_cndmask_b32 v36, v34, v36, s3 :: v_dual_cndmask_b32 v37, v37, v35, s3
	v_cmpx_lt_i32_e64 v36, v30
	s_cbranch_execz .LBB36_88
; %bb.83:
	s_delay_alu instid0(VALU_DEP_2) | instskip(SKIP_4) | instid1(SALU_CYCLE_1)
	v_cmp_lt_i32_e32 vcc_lo, v37, v28
	s_wait_dscnt 0x0
	v_cmp_nlt_f32_e64 s0, v22, v20
	s_mov_b32 s5, -1
	s_and_b32 s6, vcc_lo, s0
	s_and_saveexec_b32 s0, s6
	s_cbranch_execz .LBB36_87
; %bb.84:
	s_mov_b32 s5, 0
	s_mov_b32 s6, exec_lo
	v_cmpx_eq_f32_e32 v22, v20
; %bb.85:
	v_cmp_lt_f32_e32 vcc_lo, v23, v21
	s_and_b32 s5, vcc_lo, exec_lo
; %bb.86:
	s_or_b32 exec_lo, exec_lo, s6
	s_delay_alu instid0(SALU_CYCLE_1)
	s_or_not1_b32 s5, s5, exec_lo
.LBB36_87:
	s_or_b32 exec_lo, exec_lo, s0
	s_delay_alu instid0(SALU_CYCLE_1)
	s_and_b32 s0, s5, exec_lo
.LBB36_88:
	s_or_b32 exec_lo, exec_lo, s4
	v_dual_cndmask_b32 v18, v16, v18, s3 :: v_dual_cndmask_b32 v28, v33, v32, s2
	v_dual_cndmask_b32 v16, v35, v34, s3 :: v_dual_cndmask_b32 v30, v37, v36, s0
	; wave barrier
	ds_store_2addr_b64 v27, v[2:3], v[4:5] offset1:1
	v_lshl_add_u32 v4, v16, 2, v24
	v_and_b32_e32 v16, 0x60, v25
	v_cndmask_b32_e64 v29, v31, v29, s1
	v_lshl_add_u32 v3, v28, 2, v24
	v_lshl_add_u32 v5, v30, 2, v24
	s_delay_alu instid0(VALU_DEP_4) | instskip(NEXT) | instid1(VALU_DEP_4)
	v_or_b32_e32 v28, 16, v16
	v_lshl_add_u32 v2, v29, 2, v24
	; wave barrier
	ds_load_b32 v2, v2
	ds_load_b32 v3, v3
	;; [unrolled: 1-line block ×4, first 2 shown]
	v_dual_cndmask_b32 v19, v17, v19, s3 :: v_dual_cndmask_b32 v14, v12, v14, s2
	v_dual_cndmask_b32 v15, v13, v15, s2 :: v_dual_bitop2_b32 v12, 28, v25 bitop3:0x40
	v_dual_sub_nc_u32 v13, v28, v16 :: v_dual_cndmask_b32 v11, v9, v11, s1
	s_wait_dscnt 0x5
	v_dual_cndmask_b32 v10, v8, v10, s1 :: v_dual_cndmask_b32 v21, v21, v23, s0
	s_delay_alu instid0(VALU_DEP_3) | instskip(NEXT) | instid1(VALU_DEP_3)
	v_sub_nc_u32_e64 v17, v12, 16 clamp
	v_min_i32_e32 v9, v12, v13
	v_lshl_add_u32 v8, v16, 3, v24
	v_cndmask_b32_e64 v20, v20, v22, s0
	s_mov_b32 s0, exec_lo
	; wave barrier
	ds_store_2addr_b64 v26, v[10:11], v[14:15] offset1:1
	ds_store_2addr_b64 v26, v[18:19], v[20:21] offset0:2 offset1:3
	; wave barrier
	v_cmpx_lt_i32_e64 v17, v9
	s_cbranch_execz .LBB36_96
; %bb.89:
	v_lshl_add_u32 v10, v12, 3, v8
	s_mov_b32 s1, 0
                                        ; implicit-def: $sgpr2
	s_branch .LBB36_92
.LBB36_90:                              ;   in Loop: Header=BB36_92 Depth=1
	s_or_b32 exec_lo, exec_lo, s5
	s_delay_alu instid0(SALU_CYCLE_1) | instskip(SKIP_1) | instid1(SALU_CYCLE_1)
	s_and_not1_b32 s2, s2, exec_lo
	s_and_b32 s4, s4, exec_lo
	s_or_b32 s2, s2, s4
.LBB36_91:                              ;   in Loop: Header=BB36_92 Depth=1
	s_or_b32 exec_lo, exec_lo, s3
	v_dual_add_nc_u32 v13, 1, v11 :: v_dual_cndmask_b32 v9, v9, v11, s2
	s_delay_alu instid0(VALU_DEP_1) | instskip(NEXT) | instid1(VALU_DEP_1)
	v_cndmask_b32_e64 v17, v13, v17, s2
	v_cmp_ge_i32_e32 vcc_lo, v17, v9
	s_or_b32 s1, vcc_lo, s1
	s_delay_alu instid0(SALU_CYCLE_1)
	s_and_not1_b32 exec_lo, exec_lo, s1
	s_cbranch_execz .LBB36_95
.LBB36_92:                              ; =>This Inner Loop Header: Depth=1
	v_sub_nc_u32_e32 v11, v9, v17
	s_or_b32 s2, s2, exec_lo
	s_mov_b32 s3, exec_lo
	s_delay_alu instid0(VALU_DEP_1) | instskip(NEXT) | instid1(VALU_DEP_1)
	v_lshrrev_b32_e32 v11, 1, v11
	v_add_nc_u32_e32 v11, v11, v17
	s_delay_alu instid0(VALU_DEP_1) | instskip(SKIP_1) | instid1(VALU_DEP_2)
	v_not_b32_e32 v14, v11
	v_lshl_add_u32 v13, v11, 3, v8
	v_lshl_add_u32 v14, v14, 3, v10
	ds_load_b32 v15, v13
	ds_load_b32 v18, v14 offset:128
	s_wait_dscnt 0x0
	v_cmpx_nlt_f32_e32 v18, v15
	s_cbranch_execz .LBB36_91
; %bb.93:                               ;   in Loop: Header=BB36_92 Depth=1
	s_mov_b32 s4, 0
	s_mov_b32 s5, exec_lo
	v_cmpx_eq_f32_e32 v18, v15
	s_cbranch_execz .LBB36_90
; %bb.94:                               ;   in Loop: Header=BB36_92 Depth=1
	ds_load_b32 v14, v14 offset:132
	ds_load_b32 v13, v13 offset:4
	s_wait_dscnt 0x0
	v_cmp_lt_f32_e32 vcc_lo, v14, v13
	s_and_b32 s4, vcc_lo, exec_lo
	s_branch .LBB36_90
.LBB36_95:
	s_or_b32 exec_lo, exec_lo, s1
.LBB36_96:
	s_delay_alu instid0(SALU_CYCLE_1) | instskip(SKIP_4) | instid1(VALU_DEP_3)
	s_or_b32 exec_lo, exec_lo, s0
	v_add_nc_u32_e32 v9, v16, v12
	v_lshl_add_u32 v14, v17, 3, v8
	s_mov_b32 s0, exec_lo
	v_add_nc_u32_e32 v12, v28, v12
	v_dual_add_nc_u32 v30, 32, v16 :: v_dual_sub_nc_u32 v9, v9, v17
	s_delay_alu instid0(VALU_DEP_2) | instskip(NEXT) | instid1(VALU_DEP_2)
	v_sub_nc_u32_e32 v29, v12, v17
	v_lshl_add_u32 v18, v9, 3, v24
	ds_load_b64 v[8:9], v14
	ds_load_b64 v[10:11], v18 offset:128
	v_cmpx_le_i32_e64 v30, v29
	s_xor_b32 s0, exec_lo, s0
	s_delay_alu instid0(SALU_CYCLE_1)
	s_or_saveexec_b32 s2, s0
	s_mov_b32 s1, 0
	s_xor_b32 exec_lo, exec_lo, s2
	s_cbranch_execz .LBB36_102
; %bb.97:
	v_cmp_gt_i32_e32 vcc_lo, 16, v17
	s_wait_dscnt 0x0
	v_cmp_nlt_f32_e64 s0, v10, v8
	s_mov_b32 s1, -1
	s_and_b32 s3, vcc_lo, s0
	s_delay_alu instid0(SALU_CYCLE_1)
	s_and_saveexec_b32 s0, s3
	s_cbranch_execz .LBB36_101
; %bb.98:
	s_mov_b32 s1, 0
	s_mov_b32 s3, exec_lo
	v_cmpx_eq_f32_e32 v10, v8
; %bb.99:
	v_cmp_lt_f32_e32 vcc_lo, v11, v9
	s_and_b32 s1, vcc_lo, exec_lo
; %bb.100:
	s_or_b32 exec_lo, exec_lo, s3
	s_delay_alu instid0(SALU_CYCLE_1)
	s_or_not1_b32 s1, s1, exec_lo
.LBB36_101:
	s_or_b32 exec_lo, exec_lo, s0
	s_delay_alu instid0(SALU_CYCLE_1)
	s_and_b32 s1, s1, exec_lo
.LBB36_102:
	s_or_b32 exec_lo, exec_lo, s2
	s_xor_b32 s0, s1, -1
                                        ; implicit-def: $vgpr12_vgpr13
	s_delay_alu instid0(SALU_CYCLE_1) | instskip(NEXT) | instid1(SALU_CYCLE_1)
	s_and_saveexec_b32 s2, s0
	s_xor_b32 s0, exec_lo, s2
; %bb.103:
	ds_load_b64 v[12:13], v14 offset:8
                                        ; implicit-def: $vgpr18
; %bb.104:
	s_or_saveexec_b32 s0, s0
	s_wait_dscnt 0x0
	v_mov_b64_e32 v[14:15], v[10:11]
	s_xor_b32 exec_lo, exec_lo, s0
; %bb.105:
	ds_load_b64 v[14:15], v18 offset:136
	v_mov_b64_e32 v[12:13], v[8:9]
; %bb.106:
	s_or_b32 exec_lo, exec_lo, s0
	v_dual_add_nc_u32 v31, v17, v16 :: v_dual_add_nc_u32 v16, 1, v29
	s_mov_b32 s2, 0
	s_mov_b32 s3, exec_lo
	s_delay_alu instid0(VALU_DEP_1) | instskip(NEXT) | instid1(VALU_DEP_1)
	v_dual_add_nc_u32 v17, 1, v31 :: v_dual_cndmask_b32 v32, v29, v16, s1
	v_cndmask_b32_e64 v33, v17, v31, s1
	s_delay_alu instid0(VALU_DEP_2)
	v_cmpx_lt_i32_e64 v32, v30
	s_cbranch_execz .LBB36_112
; %bb.107:
	s_delay_alu instid0(VALU_DEP_2) | instskip(SKIP_4) | instid1(SALU_CYCLE_1)
	v_cmp_lt_i32_e32 vcc_lo, v33, v28
	s_wait_dscnt 0x0
	v_cmp_nlt_f32_e64 s0, v14, v12
	s_mov_b32 s2, -1
	s_and_b32 s4, vcc_lo, s0
	s_and_saveexec_b32 s0, s4
	s_cbranch_execz .LBB36_111
; %bb.108:
	s_mov_b32 s2, 0
	s_mov_b32 s4, exec_lo
	v_cmpx_eq_f32_e32 v14, v12
; %bb.109:
	v_cmp_lt_f32_e32 vcc_lo, v15, v13
	s_and_b32 s2, vcc_lo, exec_lo
; %bb.110:
	s_or_b32 exec_lo, exec_lo, s4
	s_delay_alu instid0(SALU_CYCLE_1)
	s_or_not1_b32 s2, s2, exec_lo
.LBB36_111:
	s_or_b32 exec_lo, exec_lo, s0
	s_delay_alu instid0(SALU_CYCLE_1)
	s_and_b32 s2, s2, exec_lo
.LBB36_112:
	s_or_b32 exec_lo, exec_lo, s3
	s_xor_b32 s0, s2, -1
                                        ; implicit-def: $vgpr16_vgpr17
	s_delay_alu instid0(SALU_CYCLE_1) | instskip(NEXT) | instid1(SALU_CYCLE_1)
	s_and_saveexec_b32 s3, s0
	s_xor_b32 s0, exec_lo, s3
; %bb.113:
	v_lshl_add_u32 v16, v33, 3, v24
	ds_load_b64 v[16:17], v16 offset:8
; %bb.114:
	s_or_saveexec_b32 s0, s0
	s_wait_dscnt 0x0
	v_mov_b64_e32 v[18:19], v[14:15]
	s_xor_b32 exec_lo, exec_lo, s0
; %bb.115:
	v_lshl_add_u32 v16, v32, 3, v24
	ds_load_b64 v[18:19], v16 offset:8
	v_mov_b64_e32 v[16:17], v[12:13]
; %bb.116:
	s_or_b32 exec_lo, exec_lo, s0
	v_add_nc_u32_e32 v20, 1, v32
	s_mov_b32 s0, exec_lo
	s_delay_alu instid0(VALU_DEP_1) | instskip(NEXT) | instid1(VALU_DEP_1)
	v_dual_cndmask_b32 v34, v32, v20, s2 :: v_dual_add_nc_u32 v20, 1, v33
	v_cmpx_ge_i32_e64 v34, v30
	s_xor_b32 s0, exec_lo, s0
	s_delay_alu instid0(SALU_CYCLE_1) | instskip(NEXT) | instid1(VALU_DEP_2)
	s_or_saveexec_b32 s4, s0
	v_cndmask_b32_e64 v35, v20, v33, s2
	s_mov_b32 s3, 0
	s_xor_b32 exec_lo, exec_lo, s4
	s_cbranch_execz .LBB36_122
; %bb.117:
	s_delay_alu instid0(VALU_DEP_1) | instskip(SKIP_4) | instid1(SALU_CYCLE_1)
	v_cmp_lt_i32_e32 vcc_lo, v35, v28
	s_wait_dscnt 0x0
	v_cmp_nlt_f32_e64 s0, v18, v16
	s_mov_b32 s3, -1
	s_and_b32 s5, vcc_lo, s0
	s_and_saveexec_b32 s0, s5
	s_cbranch_execz .LBB36_121
; %bb.118:
	s_mov_b32 s3, 0
	s_mov_b32 s5, exec_lo
	v_cmpx_eq_f32_e32 v18, v16
; %bb.119:
	v_cmp_lt_f32_e32 vcc_lo, v19, v17
	s_and_b32 s3, vcc_lo, exec_lo
; %bb.120:
	s_or_b32 exec_lo, exec_lo, s5
	s_delay_alu instid0(SALU_CYCLE_1)
	s_or_not1_b32 s3, s3, exec_lo
.LBB36_121:
	s_or_b32 exec_lo, exec_lo, s0
	s_delay_alu instid0(SALU_CYCLE_1)
	s_and_b32 s3, s3, exec_lo
.LBB36_122:
	s_or_b32 exec_lo, exec_lo, s4
	s_xor_b32 s0, s3, -1
                                        ; implicit-def: $vgpr20_vgpr21
	s_delay_alu instid0(SALU_CYCLE_1) | instskip(NEXT) | instid1(SALU_CYCLE_1)
	s_and_saveexec_b32 s4, s0
	s_xor_b32 s0, exec_lo, s4
; %bb.123:
	v_lshl_add_u32 v20, v35, 3, v24
	ds_load_b64 v[20:21], v20 offset:8
; %bb.124:
	s_or_saveexec_b32 s0, s0
	s_wait_dscnt 0x0
	v_mov_b64_e32 v[22:23], v[18:19]
	s_xor_b32 exec_lo, exec_lo, s0
; %bb.125:
	v_lshl_add_u32 v20, v34, 3, v24
	ds_load_b64 v[22:23], v20 offset:8
	v_mov_b64_e32 v[20:21], v[16:17]
; %bb.126:
	s_or_b32 exec_lo, exec_lo, s0
	v_dual_add_nc_u32 v36, 1, v34 :: v_dual_add_nc_u32 v37, 1, v35
	s_mov_b32 s0, 0
	s_mov_b32 s4, exec_lo
	s_delay_alu instid0(VALU_DEP_1) | instskip(NEXT) | instid1(VALU_DEP_1)
	v_dual_cndmask_b32 v36, v34, v36, s3 :: v_dual_cndmask_b32 v37, v37, v35, s3
	v_cmpx_lt_i32_e64 v36, v30
	s_cbranch_execz .LBB36_132
; %bb.127:
	s_delay_alu instid0(VALU_DEP_2) | instskip(SKIP_4) | instid1(SALU_CYCLE_1)
	v_cmp_lt_i32_e32 vcc_lo, v37, v28
	s_wait_dscnt 0x0
	v_cmp_nlt_f32_e64 s0, v22, v20
	s_mov_b32 s5, -1
	s_and_b32 s6, vcc_lo, s0
	s_and_saveexec_b32 s0, s6
	s_cbranch_execz .LBB36_131
; %bb.128:
	s_mov_b32 s5, 0
	s_mov_b32 s6, exec_lo
	v_cmpx_eq_f32_e32 v22, v20
; %bb.129:
	v_cmp_lt_f32_e32 vcc_lo, v23, v21
	s_and_b32 s5, vcc_lo, exec_lo
; %bb.130:
	s_or_b32 exec_lo, exec_lo, s6
	s_delay_alu instid0(SALU_CYCLE_1)
	s_or_not1_b32 s5, s5, exec_lo
.LBB36_131:
	s_or_b32 exec_lo, exec_lo, s0
	s_delay_alu instid0(SALU_CYCLE_1)
	s_and_b32 s0, s5, exec_lo
.LBB36_132:
	s_or_b32 exec_lo, exec_lo, s4
	v_dual_cndmask_b32 v18, v16, v18, s3 :: v_dual_cndmask_b32 v28, v33, v32, s2
	v_dual_cndmask_b32 v16, v35, v34, s3 :: v_dual_cndmask_b32 v30, v37, v36, s0
	; wave barrier
	ds_store_2addr_b64 v27, v[2:3], v[4:5] offset1:1
	v_lshl_add_u32 v4, v16, 2, v24
	v_dual_cndmask_b32 v19, v17, v19, s3 :: v_dual_bitop2_b32 v16, 64, v25 bitop3:0x40
	v_cndmask_b32_e64 v29, v31, v29, s1
	v_lshl_add_u32 v3, v28, 2, v24
	v_lshl_add_u32 v5, v30, 2, v24
	s_delay_alu instid0(VALU_DEP_4) | instskip(NEXT) | instid1(VALU_DEP_4)
	v_or_b32_e32 v28, 32, v16
	v_lshl_add_u32 v2, v29, 2, v24
	; wave barrier
	ds_load_b32 v2, v2
	ds_load_b32 v3, v3
	ds_load_b32 v4, v4
	ds_load_b32 v5, v5
	v_dual_cndmask_b32 v15, v13, v15, s2 :: v_dual_cndmask_b32 v14, v12, v14, s2
	v_dual_sub_nc_u32 v13, v28, v16 :: v_dual_bitop2_b32 v12, 60, v25 bitop3:0x40
	v_dual_cndmask_b32 v10, v8, v10, s1 :: v_dual_cndmask_b32 v11, v9, v11, s1
	s_wait_dscnt 0x5
	v_cndmask_b32_e64 v21, v21, v23, s0
	s_delay_alu instid0(VALU_DEP_3)
	v_sub_nc_u32_e64 v17, v12, 32 clamp
	v_min_i32_e32 v9, v12, v13
	v_lshl_add_u32 v8, v16, 3, v24
	v_cndmask_b32_e64 v20, v20, v22, s0
	s_mov_b32 s0, exec_lo
	; wave barrier
	ds_store_2addr_b64 v26, v[10:11], v[14:15] offset1:1
	ds_store_2addr_b64 v26, v[18:19], v[20:21] offset0:2 offset1:3
	; wave barrier
	v_cmpx_lt_i32_e64 v17, v9
	s_cbranch_execz .LBB36_140
; %bb.133:
	v_lshl_add_u32 v10, v12, 3, v8
	s_mov_b32 s1, 0
                                        ; implicit-def: $sgpr2
	s_branch .LBB36_136
.LBB36_134:                             ;   in Loop: Header=BB36_136 Depth=1
	s_or_b32 exec_lo, exec_lo, s5
	s_delay_alu instid0(SALU_CYCLE_1) | instskip(SKIP_1) | instid1(SALU_CYCLE_1)
	s_and_not1_b32 s2, s2, exec_lo
	s_and_b32 s4, s4, exec_lo
	s_or_b32 s2, s2, s4
.LBB36_135:                             ;   in Loop: Header=BB36_136 Depth=1
	s_or_b32 exec_lo, exec_lo, s3
	v_dual_add_nc_u32 v13, 1, v11 :: v_dual_cndmask_b32 v9, v9, v11, s2
	s_delay_alu instid0(VALU_DEP_1) | instskip(NEXT) | instid1(VALU_DEP_1)
	v_cndmask_b32_e64 v17, v13, v17, s2
	v_cmp_ge_i32_e32 vcc_lo, v17, v9
	s_or_b32 s1, vcc_lo, s1
	s_delay_alu instid0(SALU_CYCLE_1)
	s_and_not1_b32 exec_lo, exec_lo, s1
	s_cbranch_execz .LBB36_139
.LBB36_136:                             ; =>This Inner Loop Header: Depth=1
	v_sub_nc_u32_e32 v11, v9, v17
	s_or_b32 s2, s2, exec_lo
	s_mov_b32 s3, exec_lo
	s_delay_alu instid0(VALU_DEP_1) | instskip(NEXT) | instid1(VALU_DEP_1)
	v_lshrrev_b32_e32 v11, 1, v11
	v_add_nc_u32_e32 v11, v11, v17
	s_delay_alu instid0(VALU_DEP_1) | instskip(SKIP_1) | instid1(VALU_DEP_2)
	v_not_b32_e32 v14, v11
	v_lshl_add_u32 v13, v11, 3, v8
	v_lshl_add_u32 v14, v14, 3, v10
	ds_load_b32 v15, v13
	ds_load_b32 v18, v14 offset:256
	s_wait_dscnt 0x0
	v_cmpx_nlt_f32_e32 v18, v15
	s_cbranch_execz .LBB36_135
; %bb.137:                              ;   in Loop: Header=BB36_136 Depth=1
	s_mov_b32 s4, 0
	s_mov_b32 s5, exec_lo
	v_cmpx_eq_f32_e32 v18, v15
	s_cbranch_execz .LBB36_134
; %bb.138:                              ;   in Loop: Header=BB36_136 Depth=1
	ds_load_b32 v14, v14 offset:260
	ds_load_b32 v13, v13 offset:4
	s_wait_dscnt 0x0
	v_cmp_lt_f32_e32 vcc_lo, v14, v13
	s_and_b32 s4, vcc_lo, exec_lo
	s_branch .LBB36_134
.LBB36_139:
	s_or_b32 exec_lo, exec_lo, s1
.LBB36_140:
	s_delay_alu instid0(SALU_CYCLE_1) | instskip(SKIP_4) | instid1(VALU_DEP_3)
	s_or_b32 exec_lo, exec_lo, s0
	v_add_nc_u32_e32 v9, v16, v12
	v_lshl_add_u32 v14, v17, 3, v8
	s_mov_b32 s0, exec_lo
	v_add_nc_u32_e32 v12, v28, v12
	v_dual_add_nc_u32 v30, 64, v16 :: v_dual_sub_nc_u32 v9, v9, v17
	s_delay_alu instid0(VALU_DEP_2) | instskip(NEXT) | instid1(VALU_DEP_2)
	v_sub_nc_u32_e32 v29, v12, v17
	v_lshl_add_u32 v18, v9, 3, v24
	ds_load_b64 v[8:9], v14
	ds_load_b64 v[10:11], v18 offset:256
	v_cmpx_le_i32_e64 v30, v29
	s_xor_b32 s0, exec_lo, s0
	s_delay_alu instid0(SALU_CYCLE_1)
	s_or_saveexec_b32 s2, s0
	s_mov_b32 s1, 0
	s_xor_b32 exec_lo, exec_lo, s2
	s_cbranch_execz .LBB36_146
; %bb.141:
	v_cmp_gt_i32_e32 vcc_lo, 32, v17
	s_wait_dscnt 0x0
	v_cmp_nlt_f32_e64 s0, v10, v8
	s_mov_b32 s1, -1
	s_and_b32 s3, vcc_lo, s0
	s_delay_alu instid0(SALU_CYCLE_1)
	s_and_saveexec_b32 s0, s3
	s_cbranch_execz .LBB36_145
; %bb.142:
	s_mov_b32 s1, 0
	s_mov_b32 s3, exec_lo
	v_cmpx_eq_f32_e32 v10, v8
; %bb.143:
	v_cmp_lt_f32_e32 vcc_lo, v11, v9
	s_and_b32 s1, vcc_lo, exec_lo
; %bb.144:
	s_or_b32 exec_lo, exec_lo, s3
	s_delay_alu instid0(SALU_CYCLE_1)
	s_or_not1_b32 s1, s1, exec_lo
.LBB36_145:
	s_or_b32 exec_lo, exec_lo, s0
	s_delay_alu instid0(SALU_CYCLE_1)
	s_and_b32 s1, s1, exec_lo
.LBB36_146:
	s_or_b32 exec_lo, exec_lo, s2
	s_xor_b32 s0, s1, -1
                                        ; implicit-def: $vgpr12_vgpr13
	s_delay_alu instid0(SALU_CYCLE_1) | instskip(NEXT) | instid1(SALU_CYCLE_1)
	s_and_saveexec_b32 s2, s0
	s_xor_b32 s0, exec_lo, s2
; %bb.147:
	ds_load_b64 v[12:13], v14 offset:8
                                        ; implicit-def: $vgpr18
; %bb.148:
	s_or_saveexec_b32 s0, s0
	s_wait_dscnt 0x0
	v_mov_b64_e32 v[14:15], v[10:11]
	s_xor_b32 exec_lo, exec_lo, s0
; %bb.149:
	ds_load_b64 v[14:15], v18 offset:264
	v_mov_b64_e32 v[12:13], v[8:9]
; %bb.150:
	s_or_b32 exec_lo, exec_lo, s0
	v_dual_add_nc_u32 v31, v17, v16 :: v_dual_add_nc_u32 v16, 1, v29
	s_mov_b32 s2, 0
	s_mov_b32 s3, exec_lo
	s_delay_alu instid0(VALU_DEP_1) | instskip(NEXT) | instid1(VALU_DEP_1)
	v_dual_add_nc_u32 v17, 1, v31 :: v_dual_cndmask_b32 v32, v29, v16, s1
	v_cndmask_b32_e64 v33, v17, v31, s1
	s_delay_alu instid0(VALU_DEP_2)
	v_cmpx_lt_i32_e64 v32, v30
	s_cbranch_execz .LBB36_156
; %bb.151:
	s_delay_alu instid0(VALU_DEP_2) | instskip(SKIP_4) | instid1(SALU_CYCLE_1)
	v_cmp_lt_i32_e32 vcc_lo, v33, v28
	s_wait_dscnt 0x0
	v_cmp_nlt_f32_e64 s0, v14, v12
	s_mov_b32 s2, -1
	s_and_b32 s4, vcc_lo, s0
	s_and_saveexec_b32 s0, s4
	s_cbranch_execz .LBB36_155
; %bb.152:
	s_mov_b32 s2, 0
	s_mov_b32 s4, exec_lo
	v_cmpx_eq_f32_e32 v14, v12
; %bb.153:
	v_cmp_lt_f32_e32 vcc_lo, v15, v13
	s_and_b32 s2, vcc_lo, exec_lo
; %bb.154:
	s_or_b32 exec_lo, exec_lo, s4
	s_delay_alu instid0(SALU_CYCLE_1)
	s_or_not1_b32 s2, s2, exec_lo
.LBB36_155:
	s_or_b32 exec_lo, exec_lo, s0
	s_delay_alu instid0(SALU_CYCLE_1)
	s_and_b32 s2, s2, exec_lo
.LBB36_156:
	s_or_b32 exec_lo, exec_lo, s3
	s_xor_b32 s0, s2, -1
                                        ; implicit-def: $vgpr16_vgpr17
	s_delay_alu instid0(SALU_CYCLE_1) | instskip(NEXT) | instid1(SALU_CYCLE_1)
	s_and_saveexec_b32 s3, s0
	s_xor_b32 s0, exec_lo, s3
; %bb.157:
	v_lshl_add_u32 v16, v33, 3, v24
	ds_load_b64 v[16:17], v16 offset:8
; %bb.158:
	s_or_saveexec_b32 s0, s0
	s_wait_dscnt 0x0
	v_mov_b64_e32 v[18:19], v[14:15]
	s_xor_b32 exec_lo, exec_lo, s0
; %bb.159:
	v_lshl_add_u32 v16, v32, 3, v24
	ds_load_b64 v[18:19], v16 offset:8
	v_mov_b64_e32 v[16:17], v[12:13]
; %bb.160:
	s_or_b32 exec_lo, exec_lo, s0
	v_add_nc_u32_e32 v20, 1, v32
	s_mov_b32 s0, exec_lo
	s_delay_alu instid0(VALU_DEP_1) | instskip(NEXT) | instid1(VALU_DEP_1)
	v_dual_cndmask_b32 v34, v32, v20, s2 :: v_dual_add_nc_u32 v20, 1, v33
	v_cmpx_ge_i32_e64 v34, v30
	s_xor_b32 s0, exec_lo, s0
	s_delay_alu instid0(SALU_CYCLE_1) | instskip(NEXT) | instid1(VALU_DEP_2)
	s_or_saveexec_b32 s4, s0
	v_cndmask_b32_e64 v35, v20, v33, s2
	s_mov_b32 s3, 0
	s_xor_b32 exec_lo, exec_lo, s4
	s_cbranch_execz .LBB36_166
; %bb.161:
	s_delay_alu instid0(VALU_DEP_1) | instskip(SKIP_4) | instid1(SALU_CYCLE_1)
	v_cmp_lt_i32_e32 vcc_lo, v35, v28
	s_wait_dscnt 0x0
	v_cmp_nlt_f32_e64 s0, v18, v16
	s_mov_b32 s3, -1
	s_and_b32 s5, vcc_lo, s0
	s_and_saveexec_b32 s0, s5
	s_cbranch_execz .LBB36_165
; %bb.162:
	s_mov_b32 s3, 0
	s_mov_b32 s5, exec_lo
	v_cmpx_eq_f32_e32 v18, v16
; %bb.163:
	v_cmp_lt_f32_e32 vcc_lo, v19, v17
	s_and_b32 s3, vcc_lo, exec_lo
; %bb.164:
	s_or_b32 exec_lo, exec_lo, s5
	s_delay_alu instid0(SALU_CYCLE_1)
	s_or_not1_b32 s3, s3, exec_lo
.LBB36_165:
	s_or_b32 exec_lo, exec_lo, s0
	s_delay_alu instid0(SALU_CYCLE_1)
	s_and_b32 s3, s3, exec_lo
.LBB36_166:
	s_or_b32 exec_lo, exec_lo, s4
	s_xor_b32 s0, s3, -1
                                        ; implicit-def: $vgpr20_vgpr21
	s_delay_alu instid0(SALU_CYCLE_1) | instskip(NEXT) | instid1(SALU_CYCLE_1)
	s_and_saveexec_b32 s4, s0
	s_xor_b32 s0, exec_lo, s4
; %bb.167:
	v_lshl_add_u32 v20, v35, 3, v24
	ds_load_b64 v[20:21], v20 offset:8
; %bb.168:
	s_or_saveexec_b32 s0, s0
	s_wait_dscnt 0x0
	v_mov_b64_e32 v[22:23], v[18:19]
	s_xor_b32 exec_lo, exec_lo, s0
; %bb.169:
	v_lshl_add_u32 v20, v34, 3, v24
	ds_load_b64 v[22:23], v20 offset:8
	v_mov_b64_e32 v[20:21], v[16:17]
; %bb.170:
	s_or_b32 exec_lo, exec_lo, s0
	v_dual_add_nc_u32 v36, 1, v34 :: v_dual_add_nc_u32 v37, 1, v35
	s_mov_b32 s0, 0
	s_mov_b32 s4, exec_lo
	s_delay_alu instid0(VALU_DEP_1) | instskip(NEXT) | instid1(VALU_DEP_1)
	v_dual_cndmask_b32 v36, v34, v36, s3 :: v_dual_cndmask_b32 v37, v37, v35, s3
	v_cmpx_lt_i32_e64 v36, v30
	s_cbranch_execz .LBB36_176
; %bb.171:
	s_delay_alu instid0(VALU_DEP_2) | instskip(SKIP_4) | instid1(SALU_CYCLE_1)
	v_cmp_lt_i32_e32 vcc_lo, v37, v28
	s_wait_dscnt 0x0
	v_cmp_nlt_f32_e64 s0, v22, v20
	s_mov_b32 s5, -1
	s_and_b32 s6, vcc_lo, s0
	s_and_saveexec_b32 s0, s6
	s_cbranch_execz .LBB36_175
; %bb.172:
	s_mov_b32 s5, 0
	s_mov_b32 s6, exec_lo
	v_cmpx_eq_f32_e32 v22, v20
; %bb.173:
	v_cmp_lt_f32_e32 vcc_lo, v23, v21
	s_and_b32 s5, vcc_lo, exec_lo
; %bb.174:
	s_or_b32 exec_lo, exec_lo, s6
	s_delay_alu instid0(SALU_CYCLE_1)
	s_or_not1_b32 s5, s5, exec_lo
.LBB36_175:
	s_or_b32 exec_lo, exec_lo, s0
	s_delay_alu instid0(SALU_CYCLE_1)
	s_and_b32 s0, s5, exec_lo
.LBB36_176:
	s_or_b32 exec_lo, exec_lo, s4
	s_delay_alu instid0(VALU_DEP_2)
	v_dual_cndmask_b32 v29, v31, v29, s1 :: v_dual_cndmask_b32 v31, v37, v36, s0
	v_dual_cndmask_b32 v28, v35, v34, s3 :: v_dual_cndmask_b32 v30, v33, v32, s2
	; wave barrier
	ds_store_2addr_b64 v27, v[2:3], v[4:5] offset1:1
	v_lshl_add_u32 v2, v29, 2, v24
	v_lshl_add_u32 v3, v30, 2, v24
	;; [unrolled: 1-line block ×4, first 2 shown]
	; wave barrier
	ds_load_b32 v2, v2
	ds_load_b32 v3, v3
	ds_load_b32 v4, v4
	ds_load_b32 v5, v5
	v_dual_cndmask_b32 v13, v13, v15, s2 :: v_dual_cndmask_b32 v12, v12, v14, s2
	v_dual_cndmask_b32 v10, v8, v10, s1 :: v_dual_cndmask_b32 v11, v9, v11, s1
	v_sub_nc_u32_e64 v28, v25, 64 clamp
	s_wait_dscnt 0x5
	v_dual_cndmask_b32 v15, v21, v23, s0 :: v_dual_min_i32 v8, 64, v25
	v_dual_cndmask_b32 v16, v16, v18, s3 :: v_dual_cndmask_b32 v17, v17, v19, s3
	v_cndmask_b32_e64 v14, v20, v22, s0
	s_mov_b32 s0, exec_lo
	; wave barrier
	ds_store_2addr_b64 v26, v[10:11], v[12:13] offset1:1
	ds_store_2addr_b64 v26, v[16:17], v[14:15] offset0:2 offset1:3
	; wave barrier
	v_cmpx_lt_u32_e64 v28, v8
	s_cbranch_execz .LBB36_184
; %bb.177:
	s_mov_b32 s1, 0
                                        ; implicit-def: $sgpr2
	s_branch .LBB36_180
.LBB36_178:                             ;   in Loop: Header=BB36_180 Depth=1
	s_or_b32 exec_lo, exec_lo, s5
	s_delay_alu instid0(SALU_CYCLE_1) | instskip(SKIP_1) | instid1(SALU_CYCLE_1)
	s_and_not1_b32 s2, s2, exec_lo
	s_and_b32 s4, s4, exec_lo
	s_or_b32 s2, s2, s4
.LBB36_179:                             ;   in Loop: Header=BB36_180 Depth=1
	s_or_b32 exec_lo, exec_lo, s3
	v_dual_add_nc_u32 v10, 1, v9 :: v_dual_cndmask_b32 v8, v8, v9, s2
	s_delay_alu instid0(VALU_DEP_1) | instskip(NEXT) | instid1(VALU_DEP_1)
	v_cndmask_b32_e64 v28, v10, v28, s2
	v_cmp_ge_i32_e32 vcc_lo, v28, v8
	s_or_b32 s1, vcc_lo, s1
	s_delay_alu instid0(SALU_CYCLE_1)
	s_and_not1_b32 exec_lo, exec_lo, s1
	s_cbranch_execz .LBB36_183
.LBB36_180:                             ; =>This Inner Loop Header: Depth=1
	v_sub_nc_u32_e32 v9, v8, v28
	s_or_b32 s2, s2, exec_lo
	s_mov_b32 s3, exec_lo
	s_delay_alu instid0(VALU_DEP_1) | instskip(NEXT) | instid1(VALU_DEP_1)
	v_lshrrev_b32_e32 v9, 1, v9
	v_add_nc_u32_e32 v9, v9, v28
	s_delay_alu instid0(VALU_DEP_1) | instskip(SKIP_1) | instid1(VALU_DEP_2)
	v_not_b32_e32 v11, v9
	v_lshl_add_u32 v10, v9, 3, v24
	v_lshl_add_u32 v11, v11, 3, v26
	ds_load_b32 v12, v10
	ds_load_b32 v13, v11 offset:512
	s_wait_dscnt 0x0
	v_cmpx_nlt_f32_e32 v13, v12
	s_cbranch_execz .LBB36_179
; %bb.181:                              ;   in Loop: Header=BB36_180 Depth=1
	s_mov_b32 s4, 0
	s_mov_b32 s5, exec_lo
	v_cmpx_eq_f32_e32 v13, v12
	s_cbranch_execz .LBB36_178
; %bb.182:                              ;   in Loop: Header=BB36_180 Depth=1
	ds_load_b32 v11, v11 offset:516
	ds_load_b32 v10, v10 offset:4
	s_wait_dscnt 0x0
	v_cmp_lt_f32_e32 vcc_lo, v11, v10
	s_and_b32 s4, vcc_lo, exec_lo
	s_branch .LBB36_178
.LBB36_183:
	s_or_b32 exec_lo, exec_lo, s1
.LBB36_184:
	s_delay_alu instid0(SALU_CYCLE_1) | instskip(SKIP_4) | instid1(VALU_DEP_2)
	s_or_b32 exec_lo, exec_lo, s0
	v_sub_nc_u32_e32 v12, v25, v28
	v_lshl_add_u32 v14, v28, 3, v24
	s_mov_b32 s1, 0
	s_mov_b32 s2, exec_lo
	v_lshl_add_u32 v16, v12, 3, v24
	v_add_nc_u32_e32 v25, 64, v12
	ds_load_b64 v[8:9], v14
	ds_load_b64 v[10:11], v16 offset:512
	v_cmpx_gt_i32_e32 0x80, v25
	s_cbranch_execz .LBB36_190
; %bb.185:
	v_cmp_gt_i32_e32 vcc_lo, 64, v28
	s_wait_dscnt 0x0
	v_cmp_nlt_f32_e64 s0, v10, v8
	s_mov_b32 s1, -1
	s_and_b32 s3, vcc_lo, s0
	s_delay_alu instid0(SALU_CYCLE_1)
	s_and_saveexec_b32 s0, s3
	s_cbranch_execz .LBB36_189
; %bb.186:
	s_mov_b32 s1, 0
	s_mov_b32 s3, exec_lo
	v_cmpx_eq_f32_e32 v10, v8
; %bb.187:
	v_cmp_lt_f32_e32 vcc_lo, v11, v9
	s_and_b32 s1, vcc_lo, exec_lo
; %bb.188:
	s_or_b32 exec_lo, exec_lo, s3
	s_delay_alu instid0(SALU_CYCLE_1)
	s_or_not1_b32 s1, s1, exec_lo
.LBB36_189:
	s_or_b32 exec_lo, exec_lo, s0
	s_delay_alu instid0(SALU_CYCLE_1)
	s_and_b32 s1, s1, exec_lo
.LBB36_190:
	s_or_b32 exec_lo, exec_lo, s2
	s_xor_b32 s0, s1, -1
                                        ; implicit-def: $vgpr12_vgpr13
	s_delay_alu instid0(SALU_CYCLE_1) | instskip(NEXT) | instid1(SALU_CYCLE_1)
	s_and_saveexec_b32 s2, s0
	s_xor_b32 s0, exec_lo, s2
; %bb.191:
	ds_load_b64 v[12:13], v14 offset:8
                                        ; implicit-def: $vgpr16
; %bb.192:
	s_or_saveexec_b32 s0, s0
	s_wait_dscnt 0x0
	v_mov_b64_e32 v[14:15], v[10:11]
	s_xor_b32 exec_lo, exec_lo, s0
; %bb.193:
	ds_load_b64 v[14:15], v16 offset:520
	v_mov_b64_e32 v[12:13], v[8:9]
; %bb.194:
	s_or_b32 exec_lo, exec_lo, s0
	v_dual_add_nc_u32 v16, 1, v25 :: v_dual_add_nc_u32 v17, 1, v28
	s_mov_b32 s2, 0
	s_mov_b32 s3, exec_lo
	s_delay_alu instid0(VALU_DEP_1) | instskip(NEXT) | instid1(VALU_DEP_2)
	v_cndmask_b32_e64 v26, v25, v16, s1
	v_cndmask_b32_e64 v29, v17, v28, s1
	s_delay_alu instid0(VALU_DEP_2)
	v_cmpx_gt_i32_e32 0x80, v26
	s_cbranch_execz .LBB36_200
; %bb.195:
	s_delay_alu instid0(VALU_DEP_2) | instskip(SKIP_4) | instid1(SALU_CYCLE_1)
	v_cmp_gt_i32_e32 vcc_lo, 64, v29
	s_wait_dscnt 0x0
	v_cmp_nlt_f32_e64 s0, v14, v12
	s_mov_b32 s2, -1
	s_and_b32 s4, vcc_lo, s0
	s_and_saveexec_b32 s0, s4
	s_cbranch_execz .LBB36_199
; %bb.196:
	s_mov_b32 s2, 0
	s_mov_b32 s4, exec_lo
	v_cmpx_eq_f32_e32 v14, v12
; %bb.197:
	v_cmp_lt_f32_e32 vcc_lo, v15, v13
	s_and_b32 s2, vcc_lo, exec_lo
; %bb.198:
	s_or_b32 exec_lo, exec_lo, s4
	s_delay_alu instid0(SALU_CYCLE_1)
	s_or_not1_b32 s2, s2, exec_lo
.LBB36_199:
	s_or_b32 exec_lo, exec_lo, s0
	s_delay_alu instid0(SALU_CYCLE_1)
	s_and_b32 s2, s2, exec_lo
.LBB36_200:
	s_or_b32 exec_lo, exec_lo, s3
	s_xor_b32 s0, s2, -1
                                        ; implicit-def: $vgpr16_vgpr17
	s_delay_alu instid0(SALU_CYCLE_1) | instskip(NEXT) | instid1(SALU_CYCLE_1)
	s_and_saveexec_b32 s3, s0
	s_xor_b32 s0, exec_lo, s3
; %bb.201:
	v_lshl_add_u32 v16, v29, 3, v24
	ds_load_b64 v[16:17], v16 offset:8
; %bb.202:
	s_or_saveexec_b32 s0, s0
	s_wait_dscnt 0x0
	v_mov_b64_e32 v[18:19], v[14:15]
	s_xor_b32 exec_lo, exec_lo, s0
; %bb.203:
	v_lshl_add_u32 v16, v26, 3, v24
	ds_load_b64 v[18:19], v16 offset:8
	v_mov_b64_e32 v[16:17], v[12:13]
; %bb.204:
	s_or_b32 exec_lo, exec_lo, s0
	v_dual_add_nc_u32 v20, 1, v26 :: v_dual_add_nc_u32 v21, 1, v29
	s_mov_b32 s3, 0
	s_mov_b32 s4, exec_lo
	s_delay_alu instid0(VALU_DEP_1) | instskip(NEXT) | instid1(VALU_DEP_1)
	v_dual_cndmask_b32 v30, v26, v20, s2 :: v_dual_cndmask_b32 v31, v21, v29, s2
	v_cmpx_gt_i32_e32 0x80, v30
	s_cbranch_execz .LBB36_210
; %bb.205:
	s_delay_alu instid0(VALU_DEP_2) | instskip(SKIP_4) | instid1(SALU_CYCLE_1)
	v_cmp_gt_i32_e32 vcc_lo, 64, v31
	s_wait_dscnt 0x0
	v_cmp_nlt_f32_e64 s0, v18, v16
	s_mov_b32 s3, -1
	s_and_b32 s5, vcc_lo, s0
	s_and_saveexec_b32 s0, s5
	s_cbranch_execz .LBB36_209
; %bb.206:
	s_mov_b32 s3, 0
	s_mov_b32 s5, exec_lo
	v_cmpx_eq_f32_e32 v18, v16
; %bb.207:
	v_cmp_lt_f32_e32 vcc_lo, v19, v17
	s_and_b32 s3, vcc_lo, exec_lo
; %bb.208:
	s_or_b32 exec_lo, exec_lo, s5
	s_delay_alu instid0(SALU_CYCLE_1)
	s_or_not1_b32 s3, s3, exec_lo
.LBB36_209:
	s_or_b32 exec_lo, exec_lo, s0
	s_delay_alu instid0(SALU_CYCLE_1)
	s_and_b32 s3, s3, exec_lo
.LBB36_210:
	s_or_b32 exec_lo, exec_lo, s4
	s_xor_b32 s0, s3, -1
                                        ; implicit-def: $vgpr20_vgpr21
	s_delay_alu instid0(SALU_CYCLE_1) | instskip(NEXT) | instid1(SALU_CYCLE_1)
	s_and_saveexec_b32 s4, s0
	s_xor_b32 s0, exec_lo, s4
; %bb.211:
	v_lshl_add_u32 v20, v31, 3, v24
	ds_load_b64 v[20:21], v20 offset:8
; %bb.212:
	s_or_saveexec_b32 s0, s0
	s_wait_dscnt 0x0
	v_mov_b64_e32 v[22:23], v[18:19]
	s_xor_b32 exec_lo, exec_lo, s0
; %bb.213:
	v_lshl_add_u32 v20, v30, 3, v24
	ds_load_b64 v[22:23], v20 offset:8
	v_mov_b64_e32 v[20:21], v[16:17]
; %bb.214:
	s_or_b32 exec_lo, exec_lo, s0
	v_dual_add_nc_u32 v32, 1, v30 :: v_dual_add_nc_u32 v33, 1, v31
	s_mov_b32 s0, 0
	s_mov_b32 s4, exec_lo
	s_delay_alu instid0(VALU_DEP_1) | instskip(NEXT) | instid1(VALU_DEP_1)
	v_dual_cndmask_b32 v32, v30, v32, s3 :: v_dual_cndmask_b32 v33, v33, v31, s3
	v_cmpx_gt_i32_e32 0x80, v32
	s_cbranch_execz .LBB36_220
; %bb.215:
	s_delay_alu instid0(VALU_DEP_2) | instskip(SKIP_4) | instid1(SALU_CYCLE_1)
	v_cmp_gt_i32_e32 vcc_lo, 64, v33
	s_wait_dscnt 0x0
	v_cmp_nlt_f32_e64 s0, v22, v20
	s_mov_b32 s5, -1
	s_and_b32 s6, vcc_lo, s0
	s_and_saveexec_b32 s0, s6
	s_cbranch_execz .LBB36_219
; %bb.216:
	s_mov_b32 s5, 0
	s_mov_b32 s6, exec_lo
	v_cmpx_eq_f32_e32 v22, v20
; %bb.217:
	v_cmp_lt_f32_e32 vcc_lo, v23, v21
	s_and_b32 s5, vcc_lo, exec_lo
; %bb.218:
	s_or_b32 exec_lo, exec_lo, s6
	s_delay_alu instid0(SALU_CYCLE_1)
	s_or_not1_b32 s5, s5, exec_lo
.LBB36_219:
	s_or_b32 exec_lo, exec_lo, s0
	s_delay_alu instid0(SALU_CYCLE_1)
	s_and_b32 s0, s5, exec_lo
.LBB36_220:
	s_or_b32 exec_lo, exec_lo, s4
	v_dual_cndmask_b32 v30, v31, v30, s3 :: v_dual_cndmask_b32 v25, v28, v25, s1
	v_cndmask_b32_e64 v26, v29, v26, s2
	v_dual_cndmask_b32 v28, v33, v32, s0 :: v_dual_cndmask_b32 v16, v16, v18, s3
	; wave barrier
	ds_store_2addr_b64 v27, v[2:3], v[4:5] offset1:1
	v_lshl_add_u32 v2, v25, 2, v24
	v_lshl_add_u32 v3, v26, 2, v24
	;; [unrolled: 1-line block ×4, first 2 shown]
	; wave barrier
	ds_load_b32 v2, v2
	ds_load_b32 v3, v3
	;; [unrolled: 1-line block ×4, first 2 shown]
	v_dual_cndmask_b32 v17, v17, v19, s3 :: v_dual_cndmask_b32 v12, v12, v14, s2
	v_dual_cndmask_b32 v13, v13, v15, s2 :: v_dual_cndmask_b32 v10, v8, v10, s1
	s_wait_dscnt 0x5
	v_dual_cndmask_b32 v11, v9, v11, s1 :: v_dual_cndmask_b32 v18, v20, v22, s0
	v_cndmask_b32_e64 v19, v21, v23, s0
	s_clause 0x1
	global_store_b128 v[6:7], v[10:13], off
	global_store_b128 v[6:7], v[16:19], off offset:16
	s_wait_dscnt 0x0
	global_store_b128 v[0:1], v[2:5], off
	s_endpgm
	.section	.rodata,"a",@progbits
	.p2align	6, 0x0
	.amdhsa_kernel _Z21sort_keys_values_fullILj256ELj32ELj4ELb0EN10test_utils16custom_test_typeIfEEiNS0_4lessEEvPT3_PT4_T5_
		.amdhsa_group_segment_fixed_size 8256
		.amdhsa_private_segment_fixed_size 0
		.amdhsa_kernarg_size 20
		.amdhsa_user_sgpr_count 2
		.amdhsa_user_sgpr_dispatch_ptr 0
		.amdhsa_user_sgpr_queue_ptr 0
		.amdhsa_user_sgpr_kernarg_segment_ptr 1
		.amdhsa_user_sgpr_dispatch_id 0
		.amdhsa_user_sgpr_kernarg_preload_length 0
		.amdhsa_user_sgpr_kernarg_preload_offset 0
		.amdhsa_user_sgpr_private_segment_size 0
		.amdhsa_wavefront_size32 1
		.amdhsa_uses_dynamic_stack 0
		.amdhsa_enable_private_segment 0
		.amdhsa_system_sgpr_workgroup_id_x 1
		.amdhsa_system_sgpr_workgroup_id_y 0
		.amdhsa_system_sgpr_workgroup_id_z 0
		.amdhsa_system_sgpr_workgroup_info 0
		.amdhsa_system_vgpr_workitem_id 0
		.amdhsa_next_free_vgpr 38
		.amdhsa_next_free_sgpr 16
		.amdhsa_named_barrier_count 0
		.amdhsa_reserve_vcc 1
		.amdhsa_float_round_mode_32 0
		.amdhsa_float_round_mode_16_64 0
		.amdhsa_float_denorm_mode_32 3
		.amdhsa_float_denorm_mode_16_64 3
		.amdhsa_fp16_overflow 0
		.amdhsa_memory_ordered 1
		.amdhsa_forward_progress 1
		.amdhsa_inst_pref_size 55
		.amdhsa_round_robin_scheduling 0
		.amdhsa_exception_fp_ieee_invalid_op 0
		.amdhsa_exception_fp_denorm_src 0
		.amdhsa_exception_fp_ieee_div_zero 0
		.amdhsa_exception_fp_ieee_overflow 0
		.amdhsa_exception_fp_ieee_underflow 0
		.amdhsa_exception_fp_ieee_inexact 0
		.amdhsa_exception_int_div_zero 0
	.end_amdhsa_kernel
	.section	.text._Z21sort_keys_values_fullILj256ELj32ELj4ELb0EN10test_utils16custom_test_typeIfEEiNS0_4lessEEvPT3_PT4_T5_,"axG",@progbits,_Z21sort_keys_values_fullILj256ELj32ELj4ELb0EN10test_utils16custom_test_typeIfEEiNS0_4lessEEvPT3_PT4_T5_,comdat
.Lfunc_end36:
	.size	_Z21sort_keys_values_fullILj256ELj32ELj4ELb0EN10test_utils16custom_test_typeIfEEiNS0_4lessEEvPT3_PT4_T5_, .Lfunc_end36-_Z21sort_keys_values_fullILj256ELj32ELj4ELb0EN10test_utils16custom_test_typeIfEEiNS0_4lessEEvPT3_PT4_T5_
                                        ; -- End function
	.set _Z21sort_keys_values_fullILj256ELj32ELj4ELb0EN10test_utils16custom_test_typeIfEEiNS0_4lessEEvPT3_PT4_T5_.num_vgpr, 38
	.set _Z21sort_keys_values_fullILj256ELj32ELj4ELb0EN10test_utils16custom_test_typeIfEEiNS0_4lessEEvPT3_PT4_T5_.num_agpr, 0
	.set _Z21sort_keys_values_fullILj256ELj32ELj4ELb0EN10test_utils16custom_test_typeIfEEiNS0_4lessEEvPT3_PT4_T5_.numbered_sgpr, 16
	.set _Z21sort_keys_values_fullILj256ELj32ELj4ELb0EN10test_utils16custom_test_typeIfEEiNS0_4lessEEvPT3_PT4_T5_.num_named_barrier, 0
	.set _Z21sort_keys_values_fullILj256ELj32ELj4ELb0EN10test_utils16custom_test_typeIfEEiNS0_4lessEEvPT3_PT4_T5_.private_seg_size, 0
	.set _Z21sort_keys_values_fullILj256ELj32ELj4ELb0EN10test_utils16custom_test_typeIfEEiNS0_4lessEEvPT3_PT4_T5_.uses_vcc, 1
	.set _Z21sort_keys_values_fullILj256ELj32ELj4ELb0EN10test_utils16custom_test_typeIfEEiNS0_4lessEEvPT3_PT4_T5_.uses_flat_scratch, 0
	.set _Z21sort_keys_values_fullILj256ELj32ELj4ELb0EN10test_utils16custom_test_typeIfEEiNS0_4lessEEvPT3_PT4_T5_.has_dyn_sized_stack, 0
	.set _Z21sort_keys_values_fullILj256ELj32ELj4ELb0EN10test_utils16custom_test_typeIfEEiNS0_4lessEEvPT3_PT4_T5_.has_recursion, 0
	.set _Z21sort_keys_values_fullILj256ELj32ELj4ELb0EN10test_utils16custom_test_typeIfEEiNS0_4lessEEvPT3_PT4_T5_.has_indirect_call, 0
	.section	.AMDGPU.csdata,"",@progbits
; Kernel info:
; codeLenInByte = 6952
; TotalNumSgprs: 18
; NumVgprs: 38
; ScratchSize: 0
; MemoryBound: 0
; FloatMode: 240
; IeeeMode: 1
; LDSByteSize: 8256 bytes/workgroup (compile time only)
; SGPRBlocks: 0
; VGPRBlocks: 2
; NumSGPRsForWavesPerEU: 18
; NumVGPRsForWavesPerEU: 38
; NamedBarCnt: 0
; Occupancy: 16
; WaveLimiterHint : 0
; COMPUTE_PGM_RSRC2:SCRATCH_EN: 0
; COMPUTE_PGM_RSRC2:USER_SGPR: 2
; COMPUTE_PGM_RSRC2:TRAP_HANDLER: 0
; COMPUTE_PGM_RSRC2:TGID_X_EN: 1
; COMPUTE_PGM_RSRC2:TGID_Y_EN: 0
; COMPUTE_PGM_RSRC2:TGID_Z_EN: 0
; COMPUTE_PGM_RSRC2:TIDIG_COMP_CNT: 0
	.section	.text._Z21sort_keys_values_fullILj256ELj32ELj2ELb0EN10test_utils16custom_test_typeIfEEyNS0_4lessEEvPT3_PT4_T5_,"axG",@progbits,_Z21sort_keys_values_fullILj256ELj32ELj2ELb0EN10test_utils16custom_test_typeIfEEyNS0_4lessEEvPT3_PT4_T5_,comdat
	.protected	_Z21sort_keys_values_fullILj256ELj32ELj2ELb0EN10test_utils16custom_test_typeIfEEyNS0_4lessEEvPT3_PT4_T5_ ; -- Begin function _Z21sort_keys_values_fullILj256ELj32ELj2ELb0EN10test_utils16custom_test_typeIfEEyNS0_4lessEEvPT3_PT4_T5_
	.globl	_Z21sort_keys_values_fullILj256ELj32ELj2ELb0EN10test_utils16custom_test_typeIfEEyNS0_4lessEEvPT3_PT4_T5_
	.p2align	8
	.type	_Z21sort_keys_values_fullILj256ELj32ELj2ELb0EN10test_utils16custom_test_typeIfEEyNS0_4lessEEvPT3_PT4_T5_,@function
_Z21sort_keys_values_fullILj256ELj32ELj2ELb0EN10test_utils16custom_test_typeIfEEyNS0_4lessEEvPT3_PT4_T5_: ; @_Z21sort_keys_values_fullILj256ELj32ELj2ELb0EN10test_utils16custom_test_typeIfEEyNS0_4lessEEvPT3_PT4_T5_
; %bb.0:
	s_load_b128 s[8:11], s[0:1], 0x0
	s_wait_xcnt 0x0
	s_bfe_u32 s0, ttmp6, 0x4000c
	s_and_b32 s1, ttmp6, 15
	s_add_co_i32 s0, s0, 1
	s_getreg_b32 s2, hwreg(HW_REG_IB_STS2, 6, 4)
	s_mul_i32 s0, ttmp9, s0
	s_mov_b32 s5, 0
	s_add_co_i32 s1, s1, s0
	s_cmp_eq_u32 s2, 0
	v_mbcnt_lo_u32_b32 v1, -1, 0
	s_cselect_b32 s0, ttmp9, s1
	v_mov_b32_e32 v9, 0
	s_lshl_b32 s4, s0, 9
	v_lshlrev_b32_e32 v8, 4, v0
	s_lshl_b64 s[0:1], s[4:5], 3
	v_dual_lshlrev_b32 v18, 1, v1 :: v_dual_lshrrev_b32 v10, 5, v0
	s_delay_alu instid0(VALU_DEP_1)
	v_dual_mov_b32 v21, v9 :: v_dual_bitop2_b32 v20, 60, v18 bitop3:0x40
	s_wait_kmcnt 0x0
	s_add_nc_u64 s[2:3], s[8:9], s[0:1]
	s_add_nc_u64 s[6:7], s[10:11], s[0:1]
	s_clause 0x1
	global_load_b128 v[22:25], v0, s[2:3] scale_offset
	global_load_b128 v[2:5], v0, s[6:7] scale_offset
	s_wait_xcnt 0x0
	v_dual_lshlrev_b32 v0, 4, v1 :: v_dual_bitop2_b32 v19, 2, v20 bitop3:0x54
	v_and_b32_e32 v12, 2, v18
	; wave barrier
	s_delay_alu instid0(VALU_DEP_2) | instskip(NEXT) | instid1(VALU_DEP_3)
	v_dual_sub_nc_u32 v1, v19, v20 :: v_dual_lshlrev_b32 v11, 3, v20
	v_mad_u32_u24 v16, 0x208, v10, v0
	s_delay_alu instid0(VALU_DEP_2) | instskip(NEXT) | instid1(VALU_DEP_3)
	v_min_i32_e32 v0, v12, v1
	v_mad_u32_u24 v11, 0x208, v10, v11
	s_wait_loadcnt 0x1
	v_cmp_neq_f32_e32 vcc_lo, v24, v22
	v_cmp_nlt_f32_e64 s0, v25, v23
	v_cmp_nlt_f32_e64 s1, v24, v22
	s_or_b32 s0, vcc_lo, s0
	s_delay_alu instid0(SALU_CYCLE_1)
	s_and_b32 vcc_lo, s1, s0
	s_mov_b32 s1, exec_lo
	v_dual_cndmask_b32 v7, v25, v23 :: v_dual_cndmask_b32 v6, v24, v22
	v_dual_cndmask_b32 v15, v23, v25 :: v_dual_cndmask_b32 v14, v22, v24
	ds_store_2addr_b64 v16, v[6:7], v[14:15] offset1:1
	; wave barrier
	v_cmpx_lt_i32_e32 0, v0
	s_cbranch_execz .LBB37_8
; %bb.1:
	v_lshl_add_u32 v1, v12, 3, v11
	v_mov_b32_e32 v21, v9
                                        ; implicit-def: $sgpr4
	s_branch .LBB37_4
.LBB37_2:                               ;   in Loop: Header=BB37_4 Depth=1
	s_or_b32 exec_lo, exec_lo, s10
	s_delay_alu instid0(SALU_CYCLE_1) | instskip(SKIP_1) | instid1(SALU_CYCLE_1)
	s_and_not1_b32 s0, s4, exec_lo
	s_and_b32 s4, s9, exec_lo
	s_or_b32 s4, s0, s4
.LBB37_3:                               ;   in Loop: Header=BB37_4 Depth=1
	s_or_b32 exec_lo, exec_lo, s8
	v_dual_add_nc_u32 v7, 1, v6 :: v_dual_cndmask_b32 v0, v0, v6, s4
	s_delay_alu instid0(VALU_DEP_1) | instskip(NEXT) | instid1(VALU_DEP_1)
	v_cndmask_b32_e64 v21, v7, v21, s4
	v_cmp_ge_i32_e64 s0, v21, v0
	s_or_b32 s5, s0, s5
	s_delay_alu instid0(SALU_CYCLE_1)
	s_and_not1_b32 exec_lo, exec_lo, s5
	s_cbranch_execz .LBB37_7
.LBB37_4:                               ; =>This Inner Loop Header: Depth=1
	s_delay_alu instid0(VALU_DEP_1) | instskip(SKIP_2) | instid1(VALU_DEP_1)
	v_sub_nc_u32_e32 v6, v0, v21
	s_or_b32 s4, s4, exec_lo
	s_mov_b32 s8, exec_lo
	v_lshrrev_b32_e32 v6, 1, v6
	s_delay_alu instid0(VALU_DEP_1) | instskip(NEXT) | instid1(VALU_DEP_1)
	v_add_nc_u32_e32 v6, v6, v21
	v_not_b32_e32 v13, v6
	v_lshl_add_u32 v7, v6, 3, v11
	s_delay_alu instid0(VALU_DEP_2)
	v_lshl_add_u32 v13, v13, 3, v1
	ds_load_b32 v14, v7
	ds_load_b32 v15, v13 offset:16
	s_wait_dscnt 0x0
	v_cmpx_nlt_f32_e32 v15, v14
	s_cbranch_execz .LBB37_3
; %bb.5:                                ;   in Loop: Header=BB37_4 Depth=1
	s_mov_b32 s9, 0
	s_mov_b32 s10, exec_lo
	v_cmpx_eq_f32_e32 v15, v14
	s_cbranch_execz .LBB37_2
; %bb.6:                                ;   in Loop: Header=BB37_4 Depth=1
	ds_load_b32 v13, v13 offset:20
	ds_load_b32 v7, v7 offset:4
	s_wait_dscnt 0x0
	v_cmp_lt_f32_e64 s0, v13, v7
	s_and_b32 s9, s0, exec_lo
	s_branch .LBB37_2
.LBB37_7:
	s_or_b32 exec_lo, exec_lo, s5
.LBB37_8:
	s_delay_alu instid0(SALU_CYCLE_1)
	s_or_b32 exec_lo, exec_lo, s1
	v_add_nc_u64_e32 v[6:7], s[2:3], v[8:9]
	v_add_nc_u64_e32 v[0:1], s[6:7], v[8:9]
	v_dual_add_nc_u32 v8, v20, v12 :: v_dual_add_nc_u32 v12, v19, v12
	v_mul_u32_u24_e32 v17, 0x208, v10
	v_lshl_add_u32 v14, v21, 3, v11
	s_delay_alu instid0(VALU_DEP_3) | instskip(NEXT) | instid1(VALU_DEP_4)
	v_dual_add_nc_u32 v23, 4, v20 :: v_dual_sub_nc_u32 v8, v8, v21
	v_sub_nc_u32_e32 v22, v12, v21
	s_delay_alu instid0(VALU_DEP_2) | instskip(NEXT) | instid1(VALU_DEP_2)
	v_lshl_add_u32 v24, v8, 3, v17
	v_cmp_le_i32_e64 s0, v23, v22
	ds_load_b64 v[8:9], v14
	ds_load_b64 v[10:11], v24 offset:16
	s_and_saveexec_b32 s1, s0
	s_delay_alu instid0(SALU_CYCLE_1) | instskip(NEXT) | instid1(SALU_CYCLE_1)
	s_xor_b32 s0, exec_lo, s1
	s_or_saveexec_b32 s3, s0
	s_mov_b32 s2, 0
	s_xor_b32 exec_lo, exec_lo, s3
	s_cbranch_execz .LBB37_14
; %bb.9:
	v_cmp_gt_i32_e64 s0, 2, v21
	s_wait_dscnt 0x0
	v_cmp_nlt_f32_e64 s1, v10, v8
	s_and_b32 s2, s0, s1
	s_mov_b32 s0, -1
	s_and_saveexec_b32 s1, s2
	s_cbranch_execz .LBB37_13
; %bb.10:
	s_mov_b32 s2, 0
	s_mov_b32 s4, exec_lo
	v_cmpx_eq_f32_e32 v10, v8
; %bb.11:
	v_cmp_lt_f32_e64 s0, v11, v9
	s_and_b32 s2, s0, exec_lo
; %bb.12:
	s_or_b32 exec_lo, exec_lo, s4
	s_delay_alu instid0(SALU_CYCLE_1)
	s_or_not1_b32 s0, s2, exec_lo
.LBB37_13:
	s_or_b32 exec_lo, exec_lo, s1
	s_delay_alu instid0(SALU_CYCLE_1)
	s_and_b32 s2, s0, exec_lo
.LBB37_14:
	s_or_b32 exec_lo, exec_lo, s3
	s_xor_b32 s0, s2, -1
                                        ; implicit-def: $vgpr12_vgpr13
	s_delay_alu instid0(SALU_CYCLE_1) | instskip(NEXT) | instid1(SALU_CYCLE_1)
	s_and_saveexec_b32 s1, s0
	s_xor_b32 s0, exec_lo, s1
; %bb.15:
	ds_load_b64 v[12:13], v14 offset:8
                                        ; implicit-def: $vgpr24
; %bb.16:
	s_or_saveexec_b32 s0, s0
	s_wait_dscnt 0x0
	v_mov_b64_e32 v[14:15], v[10:11]
	s_xor_b32 exec_lo, exec_lo, s0
; %bb.17:
	ds_load_b64 v[14:15], v24 offset:24
	v_mov_b64_e32 v[12:13], v[8:9]
; %bb.18:
	s_or_b32 exec_lo, exec_lo, s0
	v_dual_add_nc_u32 v24, v21, v20 :: v_dual_add_nc_u32 v20, 1, v22
	s_mov_b32 s1, 0
	s_mov_b32 s3, exec_lo
	s_delay_alu instid0(VALU_DEP_1) | instskip(NEXT) | instid1(VALU_DEP_2)
	v_add_nc_u32_e32 v21, 1, v24
	v_cndmask_b32_e64 v20, v22, v20, s2
	s_delay_alu instid0(VALU_DEP_2) | instskip(NEXT) | instid1(VALU_DEP_2)
	v_cndmask_b32_e64 v21, v21, v24, s2
	v_cmpx_lt_i32_e64 v20, v23
	s_cbranch_execz .LBB37_24
; %bb.19:
	s_delay_alu instid0(VALU_DEP_2)
	v_cmp_lt_i32_e64 s0, v21, v19
	s_wait_dscnt 0x0
	v_cmp_nlt_f32_e64 s1, v14, v12
	s_and_b32 s4, s0, s1
	s_mov_b32 s0, -1
	s_and_saveexec_b32 s1, s4
	s_cbranch_execz .LBB37_23
; %bb.20:
	s_mov_b32 s4, 0
	s_mov_b32 s5, exec_lo
	v_cmpx_eq_f32_e32 v14, v12
; %bb.21:
	v_cmp_lt_f32_e64 s0, v15, v13
	s_and_b32 s4, s0, exec_lo
; %bb.22:
	s_or_b32 exec_lo, exec_lo, s5
	s_delay_alu instid0(SALU_CYCLE_1)
	s_or_not1_b32 s0, s4, exec_lo
.LBB37_23:
	s_or_b32 exec_lo, exec_lo, s1
	s_delay_alu instid0(SALU_CYCLE_1)
	s_and_b32 s1, s0, exec_lo
.LBB37_24:
	s_or_b32 exec_lo, exec_lo, s3
	s_wait_loadcnt 0x0
	v_dual_cndmask_b32 v27, v3, v5 :: v_dual_cndmask_b32 v26, v2, v4
	v_dual_cndmask_b32 v3, v5, v3 :: v_dual_cndmask_b32 v2, v4, v2
	v_dual_cndmask_b32 v4, v24, v22, s2 :: v_dual_cndmask_b32 v5, v21, v20, s1
	; wave barrier
	ds_store_2addr_b64 v16, v[2:3], v[26:27] offset1:1
	v_lshl_add_u32 v2, v4, 3, v17
	v_lshl_add_u32 v4, v5, 3, v17
	v_dual_cndmask_b32 v11, v9, v11, s2 :: v_dual_bitop2_b32 v20, 56, v18 bitop3:0x40
	; wave barrier
	ds_load_b64 v[2:3], v2
	ds_load_b64 v[4:5], v4
	v_dual_cndmask_b32 v10, v8, v10, s2 :: v_dual_bitop2_b32 v19, 4, v20 bitop3:0x54
	s_wait_dscnt 0x3
	v_dual_cndmask_b32 v13, v13, v15, s1 :: v_dual_bitop2_b32 v22, 6, v18 bitop3:0x40
	s_delay_alu instid0(VALU_DEP_2) | instskip(SKIP_1) | instid1(VALU_DEP_3)
	v_dual_cndmask_b32 v12, v12, v14, s1 :: v_dual_sub_nc_u32 v23, v19, v20
	v_lshl_add_u32 v8, v20, 3, v17
	v_sub_nc_u32_e64 v21, v22, 4 clamp
	s_mov_b32 s0, exec_lo
	s_delay_alu instid0(VALU_DEP_3)
	v_min_i32_e32 v9, v22, v23
	; wave barrier
	ds_store_2addr_b64 v16, v[10:11], v[12:13] offset1:1
	; wave barrier
	v_cmpx_lt_i32_e64 v21, v9
	s_cbranch_execz .LBB37_32
; %bb.25:
	v_lshl_add_u32 v10, v22, 3, v8
	s_mov_b32 s1, 0
                                        ; implicit-def: $sgpr2
	s_branch .LBB37_28
.LBB37_26:                              ;   in Loop: Header=BB37_28 Depth=1
	s_or_b32 exec_lo, exec_lo, s5
	s_delay_alu instid0(SALU_CYCLE_1) | instskip(SKIP_1) | instid1(SALU_CYCLE_1)
	s_and_not1_b32 s2, s2, exec_lo
	s_and_b32 s4, s4, exec_lo
	s_or_b32 s2, s2, s4
.LBB37_27:                              ;   in Loop: Header=BB37_28 Depth=1
	s_or_b32 exec_lo, exec_lo, s3
	v_dual_add_nc_u32 v12, 1, v11 :: v_dual_cndmask_b32 v9, v9, v11, s2
	s_delay_alu instid0(VALU_DEP_1) | instskip(NEXT) | instid1(VALU_DEP_1)
	v_cndmask_b32_e64 v21, v12, v21, s2
	v_cmp_ge_i32_e32 vcc_lo, v21, v9
	s_or_b32 s1, vcc_lo, s1
	s_delay_alu instid0(SALU_CYCLE_1)
	s_and_not1_b32 exec_lo, exec_lo, s1
	s_cbranch_execz .LBB37_31
.LBB37_28:                              ; =>This Inner Loop Header: Depth=1
	v_sub_nc_u32_e32 v11, v9, v21
	s_or_b32 s2, s2, exec_lo
	s_mov_b32 s3, exec_lo
	s_delay_alu instid0(VALU_DEP_1) | instskip(NEXT) | instid1(VALU_DEP_1)
	v_lshrrev_b32_e32 v11, 1, v11
	v_add_nc_u32_e32 v11, v11, v21
	s_delay_alu instid0(VALU_DEP_1) | instskip(SKIP_1) | instid1(VALU_DEP_2)
	v_not_b32_e32 v13, v11
	v_lshl_add_u32 v12, v11, 3, v8
	v_lshl_add_u32 v13, v13, 3, v10
	ds_load_b32 v14, v12
	ds_load_b32 v15, v13 offset:32
	s_wait_dscnt 0x0
	v_cmpx_nlt_f32_e32 v15, v14
	s_cbranch_execz .LBB37_27
; %bb.29:                               ;   in Loop: Header=BB37_28 Depth=1
	s_mov_b32 s4, 0
	s_mov_b32 s5, exec_lo
	v_cmpx_eq_f32_e32 v15, v14
	s_cbranch_execz .LBB37_26
; %bb.30:                               ;   in Loop: Header=BB37_28 Depth=1
	ds_load_b32 v13, v13 offset:36
	ds_load_b32 v12, v12 offset:4
	s_wait_dscnt 0x0
	v_cmp_lt_f32_e32 vcc_lo, v13, v12
	s_and_b32 s4, vcc_lo, exec_lo
	s_branch .LBB37_26
.LBB37_31:
	s_or_b32 exec_lo, exec_lo, s1
.LBB37_32:
	s_delay_alu instid0(SALU_CYCLE_1) | instskip(SKIP_3) | instid1(VALU_DEP_2)
	s_or_b32 exec_lo, exec_lo, s0
	v_dual_add_nc_u32 v9, v20, v22 :: v_dual_add_nc_u32 v12, v19, v22
	v_lshl_add_u32 v14, v21, 3, v8
	s_mov_b32 s0, exec_lo
	v_dual_add_nc_u32 v23, 8, v20 :: v_dual_sub_nc_u32 v9, v9, v21
	s_delay_alu instid0(VALU_DEP_3) | instskip(NEXT) | instid1(VALU_DEP_2)
	v_sub_nc_u32_e32 v22, v12, v21
	v_lshl_add_u32 v24, v9, 3, v17
	ds_load_b64 v[8:9], v14
	ds_load_b64 v[10:11], v24 offset:32
	v_cmpx_le_i32_e64 v23, v22
	s_xor_b32 s0, exec_lo, s0
	s_delay_alu instid0(SALU_CYCLE_1)
	s_or_saveexec_b32 s2, s0
	s_mov_b32 s1, 0
	s_xor_b32 exec_lo, exec_lo, s2
	s_cbranch_execz .LBB37_38
; %bb.33:
	v_cmp_gt_i32_e32 vcc_lo, 4, v21
	s_wait_dscnt 0x0
	v_cmp_nlt_f32_e64 s0, v10, v8
	s_mov_b32 s1, -1
	s_and_b32 s3, vcc_lo, s0
	s_delay_alu instid0(SALU_CYCLE_1)
	s_and_saveexec_b32 s0, s3
	s_cbranch_execz .LBB37_37
; %bb.34:
	s_mov_b32 s1, 0
	s_mov_b32 s3, exec_lo
	v_cmpx_eq_f32_e32 v10, v8
; %bb.35:
	v_cmp_lt_f32_e32 vcc_lo, v11, v9
	s_and_b32 s1, vcc_lo, exec_lo
; %bb.36:
	s_or_b32 exec_lo, exec_lo, s3
	s_delay_alu instid0(SALU_CYCLE_1)
	s_or_not1_b32 s1, s1, exec_lo
.LBB37_37:
	s_or_b32 exec_lo, exec_lo, s0
	s_delay_alu instid0(SALU_CYCLE_1)
	s_and_b32 s1, s1, exec_lo
.LBB37_38:
	s_or_b32 exec_lo, exec_lo, s2
	s_xor_b32 s0, s1, -1
                                        ; implicit-def: $vgpr12_vgpr13
	s_delay_alu instid0(SALU_CYCLE_1) | instskip(NEXT) | instid1(SALU_CYCLE_1)
	s_and_saveexec_b32 s2, s0
	s_xor_b32 s0, exec_lo, s2
; %bb.39:
	ds_load_b64 v[12:13], v14 offset:8
                                        ; implicit-def: $vgpr24
; %bb.40:
	s_or_saveexec_b32 s0, s0
	s_wait_dscnt 0x0
	v_mov_b64_e32 v[14:15], v[10:11]
	s_xor_b32 exec_lo, exec_lo, s0
; %bb.41:
	ds_load_b64 v[14:15], v24 offset:40
	v_mov_b64_e32 v[12:13], v[8:9]
; %bb.42:
	s_or_b32 exec_lo, exec_lo, s0
	v_dual_add_nc_u32 v20, v21, v20 :: v_dual_add_nc_u32 v21, 1, v22
	s_mov_b32 s0, 0
	s_mov_b32 s2, exec_lo
	s_delay_alu instid0(VALU_DEP_1) | instskip(NEXT) | instid1(VALU_DEP_1)
	v_dual_add_nc_u32 v24, 1, v20 :: v_dual_cndmask_b32 v21, v22, v21, s1
	v_cndmask_b32_e64 v24, v24, v20, s1
	s_delay_alu instid0(VALU_DEP_2)
	v_cmpx_lt_i32_e64 v21, v23
	s_cbranch_execz .LBB37_48
; %bb.43:
	s_delay_alu instid0(VALU_DEP_2) | instskip(SKIP_4) | instid1(SALU_CYCLE_1)
	v_cmp_lt_i32_e32 vcc_lo, v24, v19
	s_wait_dscnt 0x0
	v_cmp_nlt_f32_e64 s0, v14, v12
	s_mov_b32 s3, -1
	s_and_b32 s4, vcc_lo, s0
	s_and_saveexec_b32 s0, s4
	s_cbranch_execz .LBB37_47
; %bb.44:
	s_mov_b32 s3, 0
	s_mov_b32 s4, exec_lo
	v_cmpx_eq_f32_e32 v14, v12
; %bb.45:
	v_cmp_lt_f32_e32 vcc_lo, v15, v13
	s_and_b32 s3, vcc_lo, exec_lo
; %bb.46:
	s_or_b32 exec_lo, exec_lo, s4
	s_delay_alu instid0(SALU_CYCLE_1)
	s_or_not1_b32 s3, s3, exec_lo
.LBB37_47:
	s_or_b32 exec_lo, exec_lo, s0
	s_delay_alu instid0(SALU_CYCLE_1)
	s_and_b32 s0, s3, exec_lo
.LBB37_48:
	s_or_b32 exec_lo, exec_lo, s2
	v_dual_cndmask_b32 v19, v20, v22, s1 :: v_dual_cndmask_b32 v11, v9, v11, s1
	v_dual_cndmask_b32 v20, v24, v21, s0 :: v_dual_bitop2_b32 v22, 14, v18 bitop3:0x40
	; wave barrier
	ds_store_2addr_b64 v16, v[2:3], v[4:5] offset1:1
	v_lshl_add_u32 v2, v19, 3, v17
	v_lshl_add_u32 v4, v20, 3, v17
	s_wait_dscnt 0x1
	v_dual_cndmask_b32 v13, v13, v15, s0 :: v_dual_bitop2_b32 v20, 48, v18 bitop3:0x40
	; wave barrier
	ds_load_b64 v[2:3], v2
	ds_load_b64 v[4:5], v4
	v_dual_cndmask_b32 v10, v8, v10, s1 :: v_dual_bitop2_b32 v19, 8, v20 bitop3:0x54
	v_sub_nc_u32_e64 v21, v22, 8 clamp
	v_cndmask_b32_e64 v12, v12, v14, s0
	v_lshl_add_u32 v8, v20, 3, v17
	s_delay_alu instid0(VALU_DEP_4) | instskip(SKIP_3) | instid1(VALU_DEP_1)
	v_sub_nc_u32_e32 v23, v19, v20
	s_mov_b32 s0, exec_lo
	; wave barrier
	ds_store_2addr_b64 v16, v[10:11], v[12:13] offset1:1
	v_min_i32_e32 v9, v22, v23
	; wave barrier
	v_cmpx_lt_i32_e64 v21, v9
	s_cbranch_execz .LBB37_56
; %bb.49:
	v_lshl_add_u32 v10, v22, 3, v8
	s_mov_b32 s1, 0
                                        ; implicit-def: $sgpr2
	s_branch .LBB37_52
.LBB37_50:                              ;   in Loop: Header=BB37_52 Depth=1
	s_or_b32 exec_lo, exec_lo, s5
	s_delay_alu instid0(SALU_CYCLE_1) | instskip(SKIP_1) | instid1(SALU_CYCLE_1)
	s_and_not1_b32 s2, s2, exec_lo
	s_and_b32 s4, s4, exec_lo
	s_or_b32 s2, s2, s4
.LBB37_51:                              ;   in Loop: Header=BB37_52 Depth=1
	s_or_b32 exec_lo, exec_lo, s3
	v_dual_add_nc_u32 v12, 1, v11 :: v_dual_cndmask_b32 v9, v9, v11, s2
	s_delay_alu instid0(VALU_DEP_1) | instskip(NEXT) | instid1(VALU_DEP_1)
	v_cndmask_b32_e64 v21, v12, v21, s2
	v_cmp_ge_i32_e32 vcc_lo, v21, v9
	s_or_b32 s1, vcc_lo, s1
	s_delay_alu instid0(SALU_CYCLE_1)
	s_and_not1_b32 exec_lo, exec_lo, s1
	s_cbranch_execz .LBB37_55
.LBB37_52:                              ; =>This Inner Loop Header: Depth=1
	v_sub_nc_u32_e32 v11, v9, v21
	s_or_b32 s2, s2, exec_lo
	s_mov_b32 s3, exec_lo
	s_delay_alu instid0(VALU_DEP_1) | instskip(NEXT) | instid1(VALU_DEP_1)
	v_lshrrev_b32_e32 v11, 1, v11
	v_add_nc_u32_e32 v11, v11, v21
	s_delay_alu instid0(VALU_DEP_1) | instskip(SKIP_1) | instid1(VALU_DEP_2)
	v_not_b32_e32 v13, v11
	v_lshl_add_u32 v12, v11, 3, v8
	v_lshl_add_u32 v13, v13, 3, v10
	ds_load_b32 v14, v12
	ds_load_b32 v15, v13 offset:64
	s_wait_dscnt 0x0
	v_cmpx_nlt_f32_e32 v15, v14
	s_cbranch_execz .LBB37_51
; %bb.53:                               ;   in Loop: Header=BB37_52 Depth=1
	s_mov_b32 s4, 0
	s_mov_b32 s5, exec_lo
	v_cmpx_eq_f32_e32 v15, v14
	s_cbranch_execz .LBB37_50
; %bb.54:                               ;   in Loop: Header=BB37_52 Depth=1
	ds_load_b32 v13, v13 offset:68
	ds_load_b32 v12, v12 offset:4
	s_wait_dscnt 0x0
	v_cmp_lt_f32_e32 vcc_lo, v13, v12
	s_and_b32 s4, vcc_lo, exec_lo
	s_branch .LBB37_50
.LBB37_55:
	s_or_b32 exec_lo, exec_lo, s1
.LBB37_56:
	s_delay_alu instid0(SALU_CYCLE_1) | instskip(SKIP_3) | instid1(VALU_DEP_2)
	s_or_b32 exec_lo, exec_lo, s0
	v_dual_add_nc_u32 v9, v20, v22 :: v_dual_add_nc_u32 v12, v19, v22
	v_lshl_add_u32 v14, v21, 3, v8
	s_mov_b32 s0, exec_lo
	v_dual_add_nc_u32 v23, 16, v20 :: v_dual_sub_nc_u32 v9, v9, v21
	s_delay_alu instid0(VALU_DEP_3) | instskip(NEXT) | instid1(VALU_DEP_2)
	v_sub_nc_u32_e32 v22, v12, v21
	v_lshl_add_u32 v24, v9, 3, v17
	ds_load_b64 v[8:9], v14
	ds_load_b64 v[10:11], v24 offset:64
	v_cmpx_le_i32_e64 v23, v22
	s_xor_b32 s0, exec_lo, s0
	s_delay_alu instid0(SALU_CYCLE_1)
	s_or_saveexec_b32 s2, s0
	s_mov_b32 s1, 0
	s_xor_b32 exec_lo, exec_lo, s2
	s_cbranch_execz .LBB37_62
; %bb.57:
	v_cmp_gt_i32_e32 vcc_lo, 8, v21
	s_wait_dscnt 0x0
	v_cmp_nlt_f32_e64 s0, v10, v8
	s_mov_b32 s1, -1
	s_and_b32 s3, vcc_lo, s0
	s_delay_alu instid0(SALU_CYCLE_1)
	s_and_saveexec_b32 s0, s3
	s_cbranch_execz .LBB37_61
; %bb.58:
	s_mov_b32 s1, 0
	s_mov_b32 s3, exec_lo
	v_cmpx_eq_f32_e32 v10, v8
; %bb.59:
	v_cmp_lt_f32_e32 vcc_lo, v11, v9
	s_and_b32 s1, vcc_lo, exec_lo
; %bb.60:
	s_or_b32 exec_lo, exec_lo, s3
	s_delay_alu instid0(SALU_CYCLE_1)
	s_or_not1_b32 s1, s1, exec_lo
.LBB37_61:
	s_or_b32 exec_lo, exec_lo, s0
	s_delay_alu instid0(SALU_CYCLE_1)
	s_and_b32 s1, s1, exec_lo
.LBB37_62:
	s_or_b32 exec_lo, exec_lo, s2
	s_xor_b32 s0, s1, -1
                                        ; implicit-def: $vgpr12_vgpr13
	s_delay_alu instid0(SALU_CYCLE_1) | instskip(NEXT) | instid1(SALU_CYCLE_1)
	s_and_saveexec_b32 s2, s0
	s_xor_b32 s0, exec_lo, s2
; %bb.63:
	ds_load_b64 v[12:13], v14 offset:8
                                        ; implicit-def: $vgpr24
; %bb.64:
	s_or_saveexec_b32 s0, s0
	s_wait_dscnt 0x0
	v_mov_b64_e32 v[14:15], v[10:11]
	s_xor_b32 exec_lo, exec_lo, s0
; %bb.65:
	ds_load_b64 v[14:15], v24 offset:72
	v_mov_b64_e32 v[12:13], v[8:9]
; %bb.66:
	s_or_b32 exec_lo, exec_lo, s0
	v_dual_add_nc_u32 v20, v21, v20 :: v_dual_add_nc_u32 v21, 1, v22
	s_mov_b32 s0, 0
	s_mov_b32 s2, exec_lo
	s_delay_alu instid0(VALU_DEP_1) | instskip(NEXT) | instid1(VALU_DEP_1)
	v_dual_add_nc_u32 v24, 1, v20 :: v_dual_cndmask_b32 v21, v22, v21, s1
	v_cndmask_b32_e64 v24, v24, v20, s1
	s_delay_alu instid0(VALU_DEP_2)
	v_cmpx_lt_i32_e64 v21, v23
	s_cbranch_execz .LBB37_72
; %bb.67:
	s_delay_alu instid0(VALU_DEP_2) | instskip(SKIP_4) | instid1(SALU_CYCLE_1)
	v_cmp_lt_i32_e32 vcc_lo, v24, v19
	s_wait_dscnt 0x0
	v_cmp_nlt_f32_e64 s0, v14, v12
	s_mov_b32 s3, -1
	s_and_b32 s4, vcc_lo, s0
	s_and_saveexec_b32 s0, s4
	s_cbranch_execz .LBB37_71
; %bb.68:
	s_mov_b32 s3, 0
	s_mov_b32 s4, exec_lo
	v_cmpx_eq_f32_e32 v14, v12
; %bb.69:
	v_cmp_lt_f32_e32 vcc_lo, v15, v13
	s_and_b32 s3, vcc_lo, exec_lo
; %bb.70:
	s_or_b32 exec_lo, exec_lo, s4
	s_delay_alu instid0(SALU_CYCLE_1)
	s_or_not1_b32 s3, s3, exec_lo
.LBB37_71:
	s_or_b32 exec_lo, exec_lo, s0
	s_delay_alu instid0(SALU_CYCLE_1)
	s_and_b32 s0, s3, exec_lo
.LBB37_72:
	s_or_b32 exec_lo, exec_lo, s2
	v_dual_cndmask_b32 v19, v20, v22, s1 :: v_dual_cndmask_b32 v11, v9, v11, s1
	v_dual_cndmask_b32 v20, v24, v21, s0 :: v_dual_bitop2_b32 v22, 30, v18 bitop3:0x40
	; wave barrier
	ds_store_2addr_b64 v16, v[2:3], v[4:5] offset1:1
	v_lshl_add_u32 v2, v19, 3, v17
	v_lshl_add_u32 v4, v20, 3, v17
	s_wait_dscnt 0x1
	v_dual_cndmask_b32 v13, v13, v15, s0 :: v_dual_bitop2_b32 v20, 32, v18 bitop3:0x40
	; wave barrier
	ds_load_b64 v[2:3], v2
	ds_load_b64 v[4:5], v4
	v_dual_cndmask_b32 v10, v8, v10, s1 :: v_dual_bitop2_b32 v19, 16, v20 bitop3:0x54
	v_sub_nc_u32_e64 v21, v22, 16 clamp
	v_cndmask_b32_e64 v12, v12, v14, s0
	v_lshl_add_u32 v8, v20, 3, v17
	s_delay_alu instid0(VALU_DEP_4) | instskip(SKIP_3) | instid1(VALU_DEP_1)
	v_sub_nc_u32_e32 v23, v19, v20
	s_mov_b32 s0, exec_lo
	; wave barrier
	ds_store_2addr_b64 v16, v[10:11], v[12:13] offset1:1
	v_min_i32_e32 v9, v22, v23
	; wave barrier
	v_cmpx_lt_i32_e64 v21, v9
	s_cbranch_execz .LBB37_80
; %bb.73:
	v_lshl_add_u32 v10, v22, 3, v8
	s_mov_b32 s1, 0
                                        ; implicit-def: $sgpr2
	s_branch .LBB37_76
.LBB37_74:                              ;   in Loop: Header=BB37_76 Depth=1
	s_or_b32 exec_lo, exec_lo, s5
	s_delay_alu instid0(SALU_CYCLE_1) | instskip(SKIP_1) | instid1(SALU_CYCLE_1)
	s_and_not1_b32 s2, s2, exec_lo
	s_and_b32 s4, s4, exec_lo
	s_or_b32 s2, s2, s4
.LBB37_75:                              ;   in Loop: Header=BB37_76 Depth=1
	s_or_b32 exec_lo, exec_lo, s3
	v_dual_add_nc_u32 v12, 1, v11 :: v_dual_cndmask_b32 v9, v9, v11, s2
	s_delay_alu instid0(VALU_DEP_1) | instskip(NEXT) | instid1(VALU_DEP_1)
	v_cndmask_b32_e64 v21, v12, v21, s2
	v_cmp_ge_i32_e32 vcc_lo, v21, v9
	s_or_b32 s1, vcc_lo, s1
	s_delay_alu instid0(SALU_CYCLE_1)
	s_and_not1_b32 exec_lo, exec_lo, s1
	s_cbranch_execz .LBB37_79
.LBB37_76:                              ; =>This Inner Loop Header: Depth=1
	v_sub_nc_u32_e32 v11, v9, v21
	s_or_b32 s2, s2, exec_lo
	s_mov_b32 s3, exec_lo
	s_delay_alu instid0(VALU_DEP_1) | instskip(NEXT) | instid1(VALU_DEP_1)
	v_lshrrev_b32_e32 v11, 1, v11
	v_add_nc_u32_e32 v11, v11, v21
	s_delay_alu instid0(VALU_DEP_1) | instskip(SKIP_1) | instid1(VALU_DEP_2)
	v_not_b32_e32 v13, v11
	v_lshl_add_u32 v12, v11, 3, v8
	v_lshl_add_u32 v13, v13, 3, v10
	ds_load_b32 v14, v12
	ds_load_b32 v15, v13 offset:128
	s_wait_dscnt 0x0
	v_cmpx_nlt_f32_e32 v15, v14
	s_cbranch_execz .LBB37_75
; %bb.77:                               ;   in Loop: Header=BB37_76 Depth=1
	s_mov_b32 s4, 0
	s_mov_b32 s5, exec_lo
	v_cmpx_eq_f32_e32 v15, v14
	s_cbranch_execz .LBB37_74
; %bb.78:                               ;   in Loop: Header=BB37_76 Depth=1
	ds_load_b32 v13, v13 offset:132
	ds_load_b32 v12, v12 offset:4
	s_wait_dscnt 0x0
	v_cmp_lt_f32_e32 vcc_lo, v13, v12
	s_and_b32 s4, vcc_lo, exec_lo
	s_branch .LBB37_74
.LBB37_79:
	s_or_b32 exec_lo, exec_lo, s1
.LBB37_80:
	s_delay_alu instid0(SALU_CYCLE_1) | instskip(SKIP_3) | instid1(VALU_DEP_2)
	s_or_b32 exec_lo, exec_lo, s0
	v_dual_add_nc_u32 v9, v20, v22 :: v_dual_add_nc_u32 v12, v19, v22
	v_lshl_add_u32 v14, v21, 3, v8
	s_mov_b32 s0, exec_lo
	v_dual_add_nc_u32 v23, 32, v20 :: v_dual_sub_nc_u32 v9, v9, v21
	s_delay_alu instid0(VALU_DEP_3) | instskip(NEXT) | instid1(VALU_DEP_2)
	v_sub_nc_u32_e32 v22, v12, v21
	v_lshl_add_u32 v24, v9, 3, v17
	ds_load_b64 v[8:9], v14
	ds_load_b64 v[10:11], v24 offset:128
	v_cmpx_le_i32_e64 v23, v22
	s_xor_b32 s0, exec_lo, s0
	s_delay_alu instid0(SALU_CYCLE_1)
	s_or_saveexec_b32 s2, s0
	s_mov_b32 s1, 0
	s_xor_b32 exec_lo, exec_lo, s2
	s_cbranch_execz .LBB37_86
; %bb.81:
	v_cmp_gt_i32_e32 vcc_lo, 16, v21
	s_wait_dscnt 0x0
	v_cmp_nlt_f32_e64 s0, v10, v8
	s_mov_b32 s1, -1
	s_and_b32 s3, vcc_lo, s0
	s_delay_alu instid0(SALU_CYCLE_1)
	s_and_saveexec_b32 s0, s3
	s_cbranch_execz .LBB37_85
; %bb.82:
	s_mov_b32 s1, 0
	s_mov_b32 s3, exec_lo
	v_cmpx_eq_f32_e32 v10, v8
; %bb.83:
	v_cmp_lt_f32_e32 vcc_lo, v11, v9
	s_and_b32 s1, vcc_lo, exec_lo
; %bb.84:
	s_or_b32 exec_lo, exec_lo, s3
	s_delay_alu instid0(SALU_CYCLE_1)
	s_or_not1_b32 s1, s1, exec_lo
.LBB37_85:
	s_or_b32 exec_lo, exec_lo, s0
	s_delay_alu instid0(SALU_CYCLE_1)
	s_and_b32 s1, s1, exec_lo
.LBB37_86:
	s_or_b32 exec_lo, exec_lo, s2
	s_xor_b32 s0, s1, -1
                                        ; implicit-def: $vgpr12_vgpr13
	s_delay_alu instid0(SALU_CYCLE_1) | instskip(NEXT) | instid1(SALU_CYCLE_1)
	s_and_saveexec_b32 s2, s0
	s_xor_b32 s0, exec_lo, s2
; %bb.87:
	ds_load_b64 v[12:13], v14 offset:8
                                        ; implicit-def: $vgpr24
; %bb.88:
	s_or_saveexec_b32 s0, s0
	s_wait_dscnt 0x0
	v_mov_b64_e32 v[14:15], v[10:11]
	s_xor_b32 exec_lo, exec_lo, s0
; %bb.89:
	ds_load_b64 v[14:15], v24 offset:136
	v_mov_b64_e32 v[12:13], v[8:9]
; %bb.90:
	s_or_b32 exec_lo, exec_lo, s0
	v_dual_add_nc_u32 v20, v21, v20 :: v_dual_add_nc_u32 v21, 1, v22
	s_mov_b32 s0, 0
	s_mov_b32 s2, exec_lo
	s_delay_alu instid0(VALU_DEP_1) | instskip(NEXT) | instid1(VALU_DEP_1)
	v_dual_add_nc_u32 v24, 1, v20 :: v_dual_cndmask_b32 v21, v22, v21, s1
	v_cndmask_b32_e64 v24, v24, v20, s1
	s_delay_alu instid0(VALU_DEP_2)
	v_cmpx_lt_i32_e64 v21, v23
	s_cbranch_execz .LBB37_96
; %bb.91:
	s_delay_alu instid0(VALU_DEP_2) | instskip(SKIP_4) | instid1(SALU_CYCLE_1)
	v_cmp_lt_i32_e32 vcc_lo, v24, v19
	s_wait_dscnt 0x0
	v_cmp_nlt_f32_e64 s0, v14, v12
	s_mov_b32 s3, -1
	s_and_b32 s4, vcc_lo, s0
	s_and_saveexec_b32 s0, s4
	s_cbranch_execz .LBB37_95
; %bb.92:
	s_mov_b32 s3, 0
	s_mov_b32 s4, exec_lo
	v_cmpx_eq_f32_e32 v14, v12
; %bb.93:
	v_cmp_lt_f32_e32 vcc_lo, v15, v13
	s_and_b32 s3, vcc_lo, exec_lo
; %bb.94:
	s_or_b32 exec_lo, exec_lo, s4
	s_delay_alu instid0(SALU_CYCLE_1)
	s_or_not1_b32 s3, s3, exec_lo
.LBB37_95:
	s_or_b32 exec_lo, exec_lo, s0
	s_delay_alu instid0(SALU_CYCLE_1)
	s_and_b32 s0, s3, exec_lo
.LBB37_96:
	s_or_b32 exec_lo, exec_lo, s2
	v_dual_cndmask_b32 v19, v20, v22, s1 :: v_dual_cndmask_b32 v11, v9, v11, s1
	v_cndmask_b32_e64 v20, v24, v21, s0
	s_wait_dscnt 0x0
	v_dual_cndmask_b32 v10, v8, v10, s1 :: v_dual_cndmask_b32 v13, v13, v15, s0
	s_delay_alu instid0(VALU_DEP_3)
	v_lshl_add_u32 v19, v19, 3, v17
	v_min_i32_e32 v8, 32, v18
	v_lshl_add_u32 v20, v20, 3, v17
	; wave barrier
	ds_store_2addr_b64 v16, v[2:3], v[4:5] offset1:1
	; wave barrier
	ds_load_b64 v[2:3], v19
	ds_load_b64 v[4:5], v20
	v_sub_nc_u32_e64 v19, v18, 32 clamp
	v_cndmask_b32_e64 v12, v12, v14, s0
	s_mov_b32 s0, exec_lo
	; wave barrier
	ds_store_2addr_b64 v16, v[10:11], v[12:13] offset1:1
	; wave barrier
	v_cmpx_lt_u32_e64 v19, v8
	s_cbranch_execz .LBB37_104
; %bb.97:
	s_mov_b32 s1, 0
                                        ; implicit-def: $sgpr2
	s_branch .LBB37_100
.LBB37_98:                              ;   in Loop: Header=BB37_100 Depth=1
	s_or_b32 exec_lo, exec_lo, s5
	s_delay_alu instid0(SALU_CYCLE_1) | instskip(SKIP_1) | instid1(SALU_CYCLE_1)
	s_and_not1_b32 s2, s2, exec_lo
	s_and_b32 s4, s4, exec_lo
	s_or_b32 s2, s2, s4
.LBB37_99:                              ;   in Loop: Header=BB37_100 Depth=1
	s_or_b32 exec_lo, exec_lo, s3
	v_dual_add_nc_u32 v10, 1, v9 :: v_dual_cndmask_b32 v8, v8, v9, s2
	s_delay_alu instid0(VALU_DEP_1) | instskip(NEXT) | instid1(VALU_DEP_1)
	v_cndmask_b32_e64 v19, v10, v19, s2
	v_cmp_ge_i32_e32 vcc_lo, v19, v8
	s_or_b32 s1, vcc_lo, s1
	s_delay_alu instid0(SALU_CYCLE_1)
	s_and_not1_b32 exec_lo, exec_lo, s1
	s_cbranch_execz .LBB37_103
.LBB37_100:                             ; =>This Inner Loop Header: Depth=1
	v_sub_nc_u32_e32 v9, v8, v19
	s_or_b32 s2, s2, exec_lo
	s_mov_b32 s3, exec_lo
	s_delay_alu instid0(VALU_DEP_1) | instskip(NEXT) | instid1(VALU_DEP_1)
	v_lshrrev_b32_e32 v9, 1, v9
	v_add_nc_u32_e32 v9, v9, v19
	s_delay_alu instid0(VALU_DEP_1) | instskip(SKIP_1) | instid1(VALU_DEP_2)
	v_not_b32_e32 v11, v9
	v_lshl_add_u32 v10, v9, 3, v17
	v_lshl_add_u32 v11, v11, 3, v16
	ds_load_b32 v12, v10
	ds_load_b32 v13, v11 offset:256
	s_wait_dscnt 0x0
	v_cmpx_nlt_f32_e32 v13, v12
	s_cbranch_execz .LBB37_99
; %bb.101:                              ;   in Loop: Header=BB37_100 Depth=1
	s_mov_b32 s4, 0
	s_mov_b32 s5, exec_lo
	v_cmpx_eq_f32_e32 v13, v12
	s_cbranch_execz .LBB37_98
; %bb.102:                              ;   in Loop: Header=BB37_100 Depth=1
	ds_load_b32 v11, v11 offset:260
	ds_load_b32 v10, v10 offset:4
	s_wait_dscnt 0x0
	v_cmp_lt_f32_e32 vcc_lo, v11, v10
	s_and_b32 s4, vcc_lo, exec_lo
	s_branch .LBB37_98
.LBB37_103:
	s_or_b32 exec_lo, exec_lo, s1
.LBB37_104:
	s_delay_alu instid0(SALU_CYCLE_1) | instskip(SKIP_4) | instid1(VALU_DEP_2)
	s_or_b32 exec_lo, exec_lo, s0
	v_sub_nc_u32_e32 v12, v18, v19
	v_lshl_add_u32 v14, v19, 3, v17
	s_mov_b32 s1, 0
	s_mov_b32 s2, exec_lo
	v_lshl_add_u32 v20, v12, 3, v17
	v_add_nc_u32_e32 v18, 32, v12
	ds_load_b64 v[8:9], v14
	ds_load_b64 v[10:11], v20 offset:256
	v_cmpx_gt_i32_e32 64, v18
	s_cbranch_execz .LBB37_110
; %bb.105:
	v_cmp_gt_i32_e32 vcc_lo, 32, v19
	s_wait_dscnt 0x0
	v_cmp_nlt_f32_e64 s0, v10, v8
	s_mov_b32 s1, -1
	s_and_b32 s3, vcc_lo, s0
	s_delay_alu instid0(SALU_CYCLE_1)
	s_and_saveexec_b32 s0, s3
	s_cbranch_execz .LBB37_109
; %bb.106:
	s_mov_b32 s1, 0
	s_mov_b32 s3, exec_lo
	v_cmpx_eq_f32_e32 v10, v8
; %bb.107:
	v_cmp_lt_f32_e32 vcc_lo, v11, v9
	s_and_b32 s1, vcc_lo, exec_lo
; %bb.108:
	s_or_b32 exec_lo, exec_lo, s3
	s_delay_alu instid0(SALU_CYCLE_1)
	s_or_not1_b32 s1, s1, exec_lo
.LBB37_109:
	s_or_b32 exec_lo, exec_lo, s0
	s_delay_alu instid0(SALU_CYCLE_1)
	s_and_b32 s1, s1, exec_lo
.LBB37_110:
	s_or_b32 exec_lo, exec_lo, s2
	s_xor_b32 s0, s1, -1
                                        ; implicit-def: $vgpr12_vgpr13
	s_delay_alu instid0(SALU_CYCLE_1) | instskip(NEXT) | instid1(SALU_CYCLE_1)
	s_and_saveexec_b32 s2, s0
	s_xor_b32 s0, exec_lo, s2
; %bb.111:
	ds_load_b64 v[12:13], v14 offset:8
                                        ; implicit-def: $vgpr20
; %bb.112:
	s_or_saveexec_b32 s0, s0
	s_wait_dscnt 0x0
	v_mov_b64_e32 v[14:15], v[10:11]
	s_xor_b32 exec_lo, exec_lo, s0
; %bb.113:
	ds_load_b64 v[14:15], v20 offset:264
	v_mov_b64_e32 v[12:13], v[8:9]
; %bb.114:
	s_or_b32 exec_lo, exec_lo, s0
	v_dual_add_nc_u32 v20, 1, v18 :: v_dual_add_nc_u32 v21, 1, v19
	s_mov_b32 s0, 0
	s_mov_b32 s2, exec_lo
	s_delay_alu instid0(VALU_DEP_1) | instskip(NEXT) | instid1(VALU_DEP_1)
	v_dual_cndmask_b32 v20, v18, v20, s1 :: v_dual_cndmask_b32 v21, v21, v19, s1
	v_cmpx_gt_i32_e32 64, v20
	s_cbranch_execz .LBB37_120
; %bb.115:
	s_delay_alu instid0(VALU_DEP_2) | instskip(SKIP_4) | instid1(SALU_CYCLE_1)
	v_cmp_gt_i32_e32 vcc_lo, 32, v21
	s_wait_dscnt 0x0
	v_cmp_nlt_f32_e64 s0, v14, v12
	s_mov_b32 s3, -1
	s_and_b32 s4, vcc_lo, s0
	s_and_saveexec_b32 s0, s4
	s_cbranch_execz .LBB37_119
; %bb.116:
	s_mov_b32 s3, 0
	s_mov_b32 s4, exec_lo
	v_cmpx_eq_f32_e32 v14, v12
; %bb.117:
	v_cmp_lt_f32_e32 vcc_lo, v15, v13
	s_and_b32 s3, vcc_lo, exec_lo
; %bb.118:
	s_or_b32 exec_lo, exec_lo, s4
	s_delay_alu instid0(SALU_CYCLE_1)
	s_or_not1_b32 s3, s3, exec_lo
.LBB37_119:
	s_or_b32 exec_lo, exec_lo, s0
	s_delay_alu instid0(SALU_CYCLE_1)
	s_and_b32 s0, s3, exec_lo
.LBB37_120:
	s_or_b32 exec_lo, exec_lo, s2
	s_delay_alu instid0(VALU_DEP_2)
	v_dual_cndmask_b32 v18, v19, v18, s1 :: v_dual_cndmask_b32 v19, v21, v20, s0
	; wave barrier
	ds_store_2addr_b64 v16, v[2:3], v[4:5] offset1:1
	v_lshl_add_u32 v18, v18, 3, v17
	v_lshl_add_u32 v17, v19, 3, v17
	; wave barrier
	v_dual_cndmask_b32 v9, v9, v11, s1 :: v_dual_cndmask_b32 v8, v8, v10, s1
	ds_load_b64 v[2:3], v18
	ds_load_b64 v[4:5], v17
	s_wait_dscnt 0x3
	v_dual_cndmask_b32 v11, v13, v15, s0 :: v_dual_cndmask_b32 v10, v12, v14, s0
	global_store_b128 v[6:7], v[8:11], off
	s_wait_dscnt 0x0
	global_store_b128 v[0:1], v[2:5], off
	s_endpgm
	.section	.rodata,"a",@progbits
	.p2align	6, 0x0
	.amdhsa_kernel _Z21sort_keys_values_fullILj256ELj32ELj2ELb0EN10test_utils16custom_test_typeIfEEyNS0_4lessEEvPT3_PT4_T5_
		.amdhsa_group_segment_fixed_size 4160
		.amdhsa_private_segment_fixed_size 0
		.amdhsa_kernarg_size 20
		.amdhsa_user_sgpr_count 2
		.amdhsa_user_sgpr_dispatch_ptr 0
		.amdhsa_user_sgpr_queue_ptr 0
		.amdhsa_user_sgpr_kernarg_segment_ptr 1
		.amdhsa_user_sgpr_dispatch_id 0
		.amdhsa_user_sgpr_kernarg_preload_length 0
		.amdhsa_user_sgpr_kernarg_preload_offset 0
		.amdhsa_user_sgpr_private_segment_size 0
		.amdhsa_wavefront_size32 1
		.amdhsa_uses_dynamic_stack 0
		.amdhsa_enable_private_segment 0
		.amdhsa_system_sgpr_workgroup_id_x 1
		.amdhsa_system_sgpr_workgroup_id_y 0
		.amdhsa_system_sgpr_workgroup_id_z 0
		.amdhsa_system_sgpr_workgroup_info 0
		.amdhsa_system_vgpr_workitem_id 0
		.amdhsa_next_free_vgpr 28
		.amdhsa_next_free_sgpr 12
		.amdhsa_named_barrier_count 0
		.amdhsa_reserve_vcc 1
		.amdhsa_float_round_mode_32 0
		.amdhsa_float_round_mode_16_64 0
		.amdhsa_float_denorm_mode_32 3
		.amdhsa_float_denorm_mode_16_64 3
		.amdhsa_fp16_overflow 0
		.amdhsa_memory_ordered 1
		.amdhsa_forward_progress 1
		.amdhsa_inst_pref_size 32
		.amdhsa_round_robin_scheduling 0
		.amdhsa_exception_fp_ieee_invalid_op 0
		.amdhsa_exception_fp_denorm_src 0
		.amdhsa_exception_fp_ieee_div_zero 0
		.amdhsa_exception_fp_ieee_overflow 0
		.amdhsa_exception_fp_ieee_underflow 0
		.amdhsa_exception_fp_ieee_inexact 0
		.amdhsa_exception_int_div_zero 0
	.end_amdhsa_kernel
	.section	.text._Z21sort_keys_values_fullILj256ELj32ELj2ELb0EN10test_utils16custom_test_typeIfEEyNS0_4lessEEvPT3_PT4_T5_,"axG",@progbits,_Z21sort_keys_values_fullILj256ELj32ELj2ELb0EN10test_utils16custom_test_typeIfEEyNS0_4lessEEvPT3_PT4_T5_,comdat
.Lfunc_end37:
	.size	_Z21sort_keys_values_fullILj256ELj32ELj2ELb0EN10test_utils16custom_test_typeIfEEyNS0_4lessEEvPT3_PT4_T5_, .Lfunc_end37-_Z21sort_keys_values_fullILj256ELj32ELj2ELb0EN10test_utils16custom_test_typeIfEEyNS0_4lessEEvPT3_PT4_T5_
                                        ; -- End function
	.set _Z21sort_keys_values_fullILj256ELj32ELj2ELb0EN10test_utils16custom_test_typeIfEEyNS0_4lessEEvPT3_PT4_T5_.num_vgpr, 28
	.set _Z21sort_keys_values_fullILj256ELj32ELj2ELb0EN10test_utils16custom_test_typeIfEEyNS0_4lessEEvPT3_PT4_T5_.num_agpr, 0
	.set _Z21sort_keys_values_fullILj256ELj32ELj2ELb0EN10test_utils16custom_test_typeIfEEyNS0_4lessEEvPT3_PT4_T5_.numbered_sgpr, 12
	.set _Z21sort_keys_values_fullILj256ELj32ELj2ELb0EN10test_utils16custom_test_typeIfEEyNS0_4lessEEvPT3_PT4_T5_.num_named_barrier, 0
	.set _Z21sort_keys_values_fullILj256ELj32ELj2ELb0EN10test_utils16custom_test_typeIfEEyNS0_4lessEEvPT3_PT4_T5_.private_seg_size, 0
	.set _Z21sort_keys_values_fullILj256ELj32ELj2ELb0EN10test_utils16custom_test_typeIfEEyNS0_4lessEEvPT3_PT4_T5_.uses_vcc, 1
	.set _Z21sort_keys_values_fullILj256ELj32ELj2ELb0EN10test_utils16custom_test_typeIfEEyNS0_4lessEEvPT3_PT4_T5_.uses_flat_scratch, 0
	.set _Z21sort_keys_values_fullILj256ELj32ELj2ELb0EN10test_utils16custom_test_typeIfEEyNS0_4lessEEvPT3_PT4_T5_.has_dyn_sized_stack, 0
	.set _Z21sort_keys_values_fullILj256ELj32ELj2ELb0EN10test_utils16custom_test_typeIfEEyNS0_4lessEEvPT3_PT4_T5_.has_recursion, 0
	.set _Z21sort_keys_values_fullILj256ELj32ELj2ELb0EN10test_utils16custom_test_typeIfEEyNS0_4lessEEvPT3_PT4_T5_.has_indirect_call, 0
	.section	.AMDGPU.csdata,"",@progbits
; Kernel info:
; codeLenInByte = 4000
; TotalNumSgprs: 14
; NumVgprs: 28
; ScratchSize: 0
; MemoryBound: 0
; FloatMode: 240
; IeeeMode: 1
; LDSByteSize: 4160 bytes/workgroup (compile time only)
; SGPRBlocks: 0
; VGPRBlocks: 1
; NumSGPRsForWavesPerEU: 14
; NumVGPRsForWavesPerEU: 28
; NamedBarCnt: 0
; Occupancy: 16
; WaveLimiterHint : 0
; COMPUTE_PGM_RSRC2:SCRATCH_EN: 0
; COMPUTE_PGM_RSRC2:USER_SGPR: 2
; COMPUTE_PGM_RSRC2:TRAP_HANDLER: 0
; COMPUTE_PGM_RSRC2:TGID_X_EN: 1
; COMPUTE_PGM_RSRC2:TGID_Y_EN: 0
; COMPUTE_PGM_RSRC2:TGID_Z_EN: 0
; COMPUTE_PGM_RSRC2:TIDIG_COMP_CNT: 0
	.section	.text._Z21sort_keys_values_fullILj32ELj32ELj1ELb0E12hip_bfloat16iN10test_utils4lessEEvPT3_PT4_T5_,"axG",@progbits,_Z21sort_keys_values_fullILj32ELj32ELj1ELb0E12hip_bfloat16iN10test_utils4lessEEvPT3_PT4_T5_,comdat
	.protected	_Z21sort_keys_values_fullILj32ELj32ELj1ELb0E12hip_bfloat16iN10test_utils4lessEEvPT3_PT4_T5_ ; -- Begin function _Z21sort_keys_values_fullILj32ELj32ELj1ELb0E12hip_bfloat16iN10test_utils4lessEEvPT3_PT4_T5_
	.globl	_Z21sort_keys_values_fullILj32ELj32ELj1ELb0E12hip_bfloat16iN10test_utils4lessEEvPT3_PT4_T5_
	.p2align	8
	.type	_Z21sort_keys_values_fullILj32ELj32ELj1ELb0E12hip_bfloat16iN10test_utils4lessEEvPT3_PT4_T5_,@function
_Z21sort_keys_values_fullILj32ELj32ELj1ELb0E12hip_bfloat16iN10test_utils4lessEEvPT3_PT4_T5_: ; @_Z21sort_keys_values_fullILj32ELj32ELj1ELb0E12hip_bfloat16iN10test_utils4lessEEvPT3_PT4_T5_
; %bb.0:
	s_load_b128 s[4:7], s[0:1], 0x0
	s_wait_xcnt 0x0
	s_bfe_u32 s0, ttmp6, 0x4000c
	s_and_b32 s1, ttmp6, 15
	s_add_co_i32 s0, s0, 1
	s_getreg_b32 s2, hwreg(HW_REG_IB_STS2, 6, 4)
	s_mul_i32 s0, ttmp9, s0
	s_mov_b32 s3, 0
	s_add_co_i32 s1, s1, s0
	s_cmp_eq_u32 s2, 0
	v_mbcnt_lo_u32_b32 v6, -1, 0
	s_cselect_b32 s0, ttmp9, s1
	v_mov_b32_e32 v3, 0
	s_lshl_b32 s2, s0, 5
	v_lshlrev_b32_e32 v2, 1, v0
	s_lshl_b64 s[0:1], s[2:3], 1
	v_dual_lshlrev_b32 v4, 2, v0 :: v_dual_bitop2_b32 v9, 30, v6 bitop3:0x40
	v_dual_mov_b32 v5, v3 :: v_dual_mov_b32 v12, v3
	s_delay_alu instid0(VALU_DEP_2)
	v_lshlrev_b32_e32 v13, 1, v9
	s_wait_kmcnt 0x0
	s_add_nc_u64 s[0:1], s[4:5], s[0:1]
	s_lshl_b64 s[4:5], s[2:3], 2
	global_load_u16 v1, v0, s[0:1] scale_offset
	s_add_nc_u64 s[4:5], s[6:7], s[4:5]
	v_or_b32_e32 v10, 1, v9
	global_load_b32 v8, v0, s[4:5] scale_offset
	v_and_b32_e32 v11, 1, v6
	s_mov_b32 s2, exec_lo
	v_sub_nc_u32_e32 v7, v10, v9
	; wave barrier
	s_wait_xcnt 0x0
	s_delay_alu instid0(VALU_DEP_1)
	v_dual_lshlrev_b32 v7, 1, v6 :: v_dual_min_i32 v0, v11, v7
	s_wait_loadcnt 0x1
	ds_store_b16 v7, v1
	; wave barrier
	v_cmpx_lt_i32_e32 0, v0
	s_cbranch_execz .LBB38_4
; %bb.1:
	v_dual_mov_b32 v0, 1 :: v_dual_mov_b32 v12, v3
	v_lshl_add_u32 v1, v11, 1, v13
.LBB38_2:                               ; =>This Inner Loop Header: Depth=1
	s_delay_alu instid0(VALU_DEP_2) | instskip(NEXT) | instid1(VALU_DEP_1)
	v_sub_nc_u32_e32 v14, v0, v12
	v_lshrrev_b32_e32 v14, 1, v14
	s_delay_alu instid0(VALU_DEP_1) | instskip(NEXT) | instid1(VALU_DEP_1)
	v_add_nc_u32_e32 v14, v14, v12
	v_not_b32_e32 v15, v14
	v_lshl_add_u32 v16, v14, 1, v13
	s_delay_alu instid0(VALU_DEP_2) | instskip(SKIP_4) | instid1(VALU_DEP_1)
	v_lshl_add_u32 v15, v15, 1, v1
	ds_load_u16 v16, v16
	ds_load_u16 v15, v15 offset:2
	s_wait_dscnt 0x0
	v_dual_lshlrev_b32 v16, 16, v16 :: v_dual_lshlrev_b32 v15, 16, v15
	v_cmp_lt_f32_e32 vcc_lo, v15, v16
	v_add_nc_u32_e32 v17, 1, v14
	s_delay_alu instid0(VALU_DEP_1) | instskip(NEXT) | instid1(VALU_DEP_1)
	v_dual_cndmask_b32 v12, v17, v12, vcc_lo :: v_dual_cndmask_b32 v0, v0, v14, vcc_lo
	v_cmp_ge_i32_e32 vcc_lo, v12, v0
	s_or_b32 s3, vcc_lo, s3
	s_delay_alu instid0(SALU_CYCLE_1)
	s_and_not1_b32 exec_lo, exec_lo, s3
	s_cbranch_execnz .LBB38_2
; %bb.3:
	s_or_b32 exec_lo, exec_lo, s3
.LBB38_4:
	s_delay_alu instid0(SALU_CYCLE_1)
	s_or_b32 exec_lo, exec_lo, s2
	v_add_nc_u64_e32 v[0:1], s[0:1], v[2:3]
	v_add_nc_u64_e32 v[2:3], s[4:5], v[4:5]
	v_dual_add_nc_u32 v4, v9, v11 :: v_dual_add_nc_u32 v11, v10, v11
	v_lshl_add_u32 v5, v12, 1, v13
	v_cmp_lt_i32_e32 vcc_lo, 0, v12
	v_add_nc_u32_e32 v9, v12, v9
	s_delay_alu instid0(VALU_DEP_4) | instskip(NEXT) | instid1(VALU_DEP_1)
	v_dual_sub_nc_u32 v4, v4, v12 :: v_dual_sub_nc_u32 v11, v11, v12
	v_lshlrev_b32_e32 v4, 1, v4
	s_delay_alu instid0(VALU_DEP_2) | instskip(SKIP_4) | instid1(VALU_DEP_1)
	v_cmp_ge_i32_e64 s1, v10, v11
	ds_load_u16 v5, v5
	ds_load_u16 v4, v4 offset:2
	; wave barrier
	s_wait_dscnt 0x0
	v_dual_lshlrev_b32 v13, 16, v5 :: v_dual_lshlrev_b32 v14, 16, v4
	v_cmp_lt_f32_e64 s0, v14, v13
	s_or_b32 s0, vcc_lo, s0
	s_delay_alu instid0(SALU_CYCLE_1)
	s_and_b32 vcc_lo, s1, s0
	s_mov_b32 s0, 0
	v_dual_cndmask_b32 v14, v5, v4, vcc_lo :: v_dual_add_nc_u32 v4, v7, v7
	v_dual_cndmask_b32 v5, v9, v11, vcc_lo :: v_dual_bitop2_b32 v9, 28, v6 bitop3:0x40
	v_and_b32_e32 v11, 3, v6
	s_mov_b32 s1, exec_lo
	s_wait_loadcnt 0x0
	ds_store_b32 v4, v8
	v_lshlrev_b32_e32 v5, 2, v5
	; wave barrier
	v_or_b32_e32 v10, 2, v9
	v_sub_nc_u32_e64 v8, v11, 2 clamp
	ds_load_b32 v5, v5
	; wave barrier
	v_sub_nc_u32_e32 v12, v10, v9
	ds_store_b16 v7, v14
	; wave barrier
	v_dual_lshlrev_b32 v12, 1, v9 :: v_dual_min_i32 v13, v11, v12
	s_delay_alu instid0(VALU_DEP_1)
	v_cmpx_lt_i32_e64 v8, v13
	s_cbranch_execz .LBB38_8
; %bb.5:
	s_delay_alu instid0(VALU_DEP_2)
	v_lshl_add_u32 v14, v11, 1, v12
.LBB38_6:                               ; =>This Inner Loop Header: Depth=1
	v_sub_nc_u32_e32 v15, v13, v8
	s_delay_alu instid0(VALU_DEP_1) | instskip(NEXT) | instid1(VALU_DEP_1)
	v_lshrrev_b32_e32 v15, 1, v15
	v_add_nc_u32_e32 v15, v15, v8
	s_delay_alu instid0(VALU_DEP_1) | instskip(SKIP_1) | instid1(VALU_DEP_2)
	v_not_b32_e32 v16, v15
	v_lshl_add_u32 v17, v15, 1, v12
	v_lshl_add_u32 v16, v16, 1, v14
	ds_load_u16 v17, v17
	ds_load_u16 v16, v16 offset:4
	s_wait_dscnt 0x0
	v_dual_lshlrev_b32 v17, 16, v17 :: v_dual_lshlrev_b32 v16, 16, v16
	s_delay_alu instid0(VALU_DEP_1) | instskip(SKIP_1) | instid1(VALU_DEP_1)
	v_cmp_lt_f32_e32 vcc_lo, v16, v17
	v_add_nc_u32_e32 v18, 1, v15
	v_dual_cndmask_b32 v8, v18, v8 :: v_dual_cndmask_b32 v13, v13, v15
	s_delay_alu instid0(VALU_DEP_1) | instskip(SKIP_1) | instid1(SALU_CYCLE_1)
	v_cmp_ge_i32_e32 vcc_lo, v8, v13
	s_or_b32 s0, vcc_lo, s0
	s_and_not1_b32 exec_lo, exec_lo, s0
	s_cbranch_execnz .LBB38_6
; %bb.7:
	s_or_b32 exec_lo, exec_lo, s0
.LBB38_8:
	s_delay_alu instid0(SALU_CYCLE_1) | instskip(SKIP_3) | instid1(VALU_DEP_3)
	s_or_b32 exec_lo, exec_lo, s1
	v_dual_add_nc_u32 v13, v9, v11 :: v_dual_add_nc_u32 v10, v10, v11
	v_lshl_add_u32 v12, v8, 1, v12
	v_cmp_lt_i32_e32 vcc_lo, 1, v8
	v_dual_add_nc_u32 v15, 4, v9 :: v_dual_sub_nc_u32 v13, v13, v8
	s_delay_alu instid0(VALU_DEP_4) | instskip(NEXT) | instid1(VALU_DEP_2)
	v_dual_sub_nc_u32 v10, v10, v8 :: v_dual_add_nc_u32 v8, v8, v9
	v_lshlrev_b32_e32 v13, 1, v13
	ds_load_u16 v12, v12
	ds_load_u16 v13, v13 offset:4
	; wave barrier
	s_wait_dscnt 0x3
	ds_store_b32 v4, v5
	; wave barrier
	v_cmp_gt_i32_e64 s1, v15, v10
	s_wait_dscnt 0x1
	v_dual_lshlrev_b32 v11, 16, v12 :: v_dual_lshlrev_b32 v14, 16, v13
	s_delay_alu instid0(VALU_DEP_1) | instskip(SKIP_1) | instid1(SALU_CYCLE_1)
	v_cmp_lt_f32_e64 s0, v14, v11
	s_or_b32 s0, vcc_lo, s0
	s_and_b32 vcc_lo, s1, s0
	s_mov_b32 s0, exec_lo
	v_cndmask_b32_e32 v14, v12, v13, vcc_lo
	v_cndmask_b32_e32 v9, v8, v10, vcc_lo
	v_and_b32_e32 v8, 24, v6
	s_delay_alu instid0(VALU_DEP_1) | instskip(NEXT) | instid1(VALU_DEP_1)
	v_dual_lshlrev_b32 v9, 2, v9 :: v_dual_bitop2_b32 v10, 4, v8 bitop3:0x54
	v_dual_sub_nc_u32 v12, v10, v8 :: v_dual_bitop2_b32 v11, 7, v6 bitop3:0x40
	ds_load_b32 v5, v9
	v_sub_nc_u32_e64 v9, v11, 4 clamp
	; wave barrier
	v_min_i32_e32 v13, v11, v12
	v_lshlrev_b32_e32 v12, 1, v8
	ds_store_b16 v7, v14
	; wave barrier
	v_cmpx_lt_i32_e64 v9, v13
	s_cbranch_execz .LBB38_12
; %bb.9:
	v_lshl_add_u32 v14, v11, 1, v12
	s_mov_b32 s1, 0
.LBB38_10:                              ; =>This Inner Loop Header: Depth=1
	v_sub_nc_u32_e32 v15, v13, v9
	s_delay_alu instid0(VALU_DEP_1) | instskip(NEXT) | instid1(VALU_DEP_1)
	v_lshrrev_b32_e32 v15, 1, v15
	v_add_nc_u32_e32 v15, v15, v9
	s_delay_alu instid0(VALU_DEP_1) | instskip(SKIP_1) | instid1(VALU_DEP_2)
	v_not_b32_e32 v16, v15
	v_lshl_add_u32 v17, v15, 1, v12
	v_lshl_add_u32 v16, v16, 1, v14
	ds_load_u16 v17, v17
	ds_load_u16 v16, v16 offset:8
	s_wait_dscnt 0x0
	v_dual_lshlrev_b32 v17, 16, v17 :: v_dual_lshlrev_b32 v16, 16, v16
	s_delay_alu instid0(VALU_DEP_1) | instskip(SKIP_1) | instid1(VALU_DEP_1)
	v_cmp_lt_f32_e32 vcc_lo, v16, v17
	v_add_nc_u32_e32 v18, 1, v15
	v_dual_cndmask_b32 v9, v18, v9, vcc_lo :: v_dual_cndmask_b32 v13, v13, v15, vcc_lo
	s_delay_alu instid0(VALU_DEP_1) | instskip(SKIP_1) | instid1(SALU_CYCLE_1)
	v_cmp_ge_i32_e32 vcc_lo, v9, v13
	s_or_b32 s1, vcc_lo, s1
	s_and_not1_b32 exec_lo, exec_lo, s1
	s_cbranch_execnz .LBB38_10
; %bb.11:
	s_or_b32 exec_lo, exec_lo, s1
.LBB38_12:
	s_delay_alu instid0(SALU_CYCLE_1) | instskip(SKIP_3) | instid1(VALU_DEP_3)
	s_or_b32 exec_lo, exec_lo, s0
	v_dual_add_nc_u32 v13, v8, v11 :: v_dual_add_nc_u32 v10, v10, v11
	v_lshl_add_u32 v12, v9, 1, v12
	v_cmp_lt_i32_e32 vcc_lo, 3, v9
	v_dual_add_nc_u32 v15, 8, v8 :: v_dual_sub_nc_u32 v13, v13, v9
	s_delay_alu instid0(VALU_DEP_4) | instskip(NEXT) | instid1(VALU_DEP_2)
	v_dual_sub_nc_u32 v10, v10, v9 :: v_dual_add_nc_u32 v8, v9, v8
	v_lshlrev_b32_e32 v13, 1, v13
	ds_load_u16 v12, v12
	ds_load_u16 v13, v13 offset:8
	v_cmp_gt_i32_e64 s1, v15, v10
	; wave barrier
	s_wait_dscnt 0x3
	ds_store_b32 v4, v5
	; wave barrier
	s_wait_dscnt 0x1
	v_dual_lshlrev_b32 v11, 16, v12 :: v_dual_lshlrev_b32 v14, 16, v13
	s_delay_alu instid0(VALU_DEP_1) | instskip(SKIP_2) | instid1(SALU_CYCLE_1)
	v_cmp_lt_f32_e64 s0, v14, v11
	v_and_b32_e32 v11, 15, v6
	s_or_b32 s0, vcc_lo, s0
	s_and_b32 vcc_lo, s1, s0
	s_mov_b32 s0, exec_lo
	v_cndmask_b32_e32 v9, v8, v10, vcc_lo
	v_dual_cndmask_b32 v14, v12, v13, vcc_lo :: v_dual_bitop2_b32 v8, 16, v6 bitop3:0x40
	s_delay_alu instid0(VALU_DEP_1) | instskip(NEXT) | instid1(VALU_DEP_1)
	v_or_b32_e32 v10, 8, v8
	v_dual_sub_nc_u32 v12, v10, v8 :: v_dual_lshlrev_b32 v9, 2, v9
	s_delay_alu instid0(VALU_DEP_1)
	v_min_i32_e32 v13, v11, v12
	ds_load_b32 v5, v9
	v_sub_nc_u32_e64 v9, v11, 8 clamp
	v_lshlrev_b32_e32 v12, 1, v8
	; wave barrier
	ds_store_b16 v7, v14
	; wave barrier
	v_cmpx_lt_i32_e64 v9, v13
	s_cbranch_execz .LBB38_16
; %bb.13:
	v_lshl_add_u32 v14, v11, 1, v12
	s_mov_b32 s1, 0
.LBB38_14:                              ; =>This Inner Loop Header: Depth=1
	v_sub_nc_u32_e32 v15, v13, v9
	s_delay_alu instid0(VALU_DEP_1) | instskip(NEXT) | instid1(VALU_DEP_1)
	v_lshrrev_b32_e32 v15, 1, v15
	v_add_nc_u32_e32 v15, v15, v9
	s_delay_alu instid0(VALU_DEP_1) | instskip(SKIP_1) | instid1(VALU_DEP_2)
	v_not_b32_e32 v16, v15
	v_lshl_add_u32 v17, v15, 1, v12
	v_lshl_add_u32 v16, v16, 1, v14
	ds_load_u16 v17, v17
	ds_load_u16 v16, v16 offset:16
	s_wait_dscnt 0x0
	v_dual_lshlrev_b32 v17, 16, v17 :: v_dual_lshlrev_b32 v16, 16, v16
	s_delay_alu instid0(VALU_DEP_1) | instskip(SKIP_1) | instid1(VALU_DEP_1)
	v_cmp_lt_f32_e32 vcc_lo, v16, v17
	v_add_nc_u32_e32 v18, 1, v15
	v_dual_cndmask_b32 v9, v18, v9, vcc_lo :: v_dual_cndmask_b32 v13, v13, v15, vcc_lo
	s_delay_alu instid0(VALU_DEP_1) | instskip(SKIP_1) | instid1(SALU_CYCLE_1)
	v_cmp_ge_i32_e32 vcc_lo, v9, v13
	s_or_b32 s1, vcc_lo, s1
	s_and_not1_b32 exec_lo, exec_lo, s1
	s_cbranch_execnz .LBB38_14
; %bb.15:
	s_or_b32 exec_lo, exec_lo, s1
.LBB38_16:
	s_delay_alu instid0(SALU_CYCLE_1) | instskip(SKIP_3) | instid1(VALU_DEP_3)
	s_or_b32 exec_lo, exec_lo, s0
	v_dual_add_nc_u32 v13, v8, v11 :: v_dual_add_nc_u32 v10, v10, v11
	v_lshl_add_u32 v12, v9, 1, v12
	v_cmp_lt_i32_e32 vcc_lo, 7, v9
	v_dual_add_nc_u32 v15, 16, v8 :: v_dual_sub_nc_u32 v13, v13, v9
	s_delay_alu instid0(VALU_DEP_4) | instskip(SKIP_1) | instid1(VALU_DEP_3)
	v_dual_sub_nc_u32 v10, v10, v9 :: v_dual_add_nc_u32 v8, v9, v8
	v_min_u32_e32 v9, 16, v6
	v_lshlrev_b32_e32 v13, 1, v13
	ds_load_u16 v12, v12
	ds_load_u16 v13, v13 offset:16
	v_cmp_gt_i32_e64 s1, v15, v10
	; wave barrier
	s_wait_dscnt 0x3
	ds_store_b32 v4, v5
	; wave barrier
	s_wait_dscnt 0x1
	v_dual_lshlrev_b32 v11, 16, v12 :: v_dual_lshlrev_b32 v14, 16, v13
	s_delay_alu instid0(VALU_DEP_1) | instskip(SKIP_1) | instid1(SALU_CYCLE_1)
	v_cmp_lt_f32_e64 s0, v14, v11
	s_or_b32 s0, vcc_lo, s0
	s_and_b32 vcc_lo, s1, s0
	s_mov_b32 s0, exec_lo
	v_cndmask_b32_e32 v8, v8, v10, vcc_lo
	s_delay_alu instid0(VALU_DEP_1)
	v_dual_cndmask_b32 v11, v12, v13 :: v_dual_lshlrev_b32 v8, 2, v8
	ds_load_b32 v5, v8
	v_sub_nc_u32_e64 v8, v6, 16 clamp
	; wave barrier
	ds_store_b16 v7, v11
	; wave barrier
	v_cmpx_lt_u32_e64 v8, v9
	s_cbranch_execz .LBB38_20
; %bb.17:
	s_mov_b32 s1, 0
.LBB38_18:                              ; =>This Inner Loop Header: Depth=1
	v_sub_nc_u32_e32 v10, v9, v8
	s_delay_alu instid0(VALU_DEP_1) | instskip(NEXT) | instid1(VALU_DEP_1)
	v_lshrrev_b32_e32 v10, 1, v10
	v_add_nc_u32_e32 v10, v10, v8
	s_delay_alu instid0(VALU_DEP_1) | instskip(SKIP_1) | instid1(VALU_DEP_2)
	v_not_b32_e32 v11, v10
	v_dual_lshlrev_b32 v12, 1, v10 :: v_dual_add_nc_u32 v13, 1, v10
	v_lshl_add_u32 v11, v11, 1, v7
	ds_load_u16 v12, v12
	ds_load_u16 v11, v11 offset:32
	s_wait_dscnt 0x0
	v_dual_lshlrev_b32 v12, 16, v12 :: v_dual_lshlrev_b32 v11, 16, v11
	s_delay_alu instid0(VALU_DEP_1) | instskip(SKIP_2) | instid1(VALU_DEP_1)
	v_cmp_lt_f32_e32 vcc_lo, v11, v12
	v_cndmask_b32_e32 v8, v13, v8, vcc_lo
	v_cndmask_b32_e32 v9, v9, v10, vcc_lo
	v_cmp_ge_i32_e32 vcc_lo, v8, v9
	s_or_b32 s1, vcc_lo, s1
	s_delay_alu instid0(SALU_CYCLE_1)
	s_and_not1_b32 exec_lo, exec_lo, s1
	s_cbranch_execnz .LBB38_18
; %bb.19:
	s_or_b32 exec_lo, exec_lo, s1
.LBB38_20:
	s_delay_alu instid0(SALU_CYCLE_1) | instskip(SKIP_2) | instid1(VALU_DEP_2)
	s_or_b32 exec_lo, exec_lo, s0
	v_dual_sub_nc_u32 v6, v6, v8 :: v_dual_lshlrev_b32 v7, 1, v8
	v_cmp_lt_i32_e32 vcc_lo, 15, v8
	v_lshlrev_b32_e32 v9, 1, v6
	ds_load_u16 v7, v7
	ds_load_u16 v9, v9 offset:32
	; wave barrier
	s_wait_dscnt 0x3
	ds_store_b32 v4, v5
	; wave barrier
	v_add_nc_u32_e32 v6, 16, v6
	s_delay_alu instid0(VALU_DEP_1) | instskip(SKIP_2) | instid1(VALU_DEP_1)
	v_cmp_gt_i32_e64 s1, 32, v6
	s_wait_dscnt 0x1
	v_dual_lshlrev_b32 v10, 16, v7 :: v_dual_lshlrev_b32 v11, 16, v9
	v_cmp_lt_f32_e64 s0, v11, v10
	s_or_b32 s0, vcc_lo, s0
	s_delay_alu instid0(SALU_CYCLE_1) | instskip(SKIP_1) | instid1(VALU_DEP_1)
	s_and_b32 vcc_lo, s1, s0
	v_dual_cndmask_b32 v7, v7, v9 :: v_dual_cndmask_b32 v6, v8, v6
	v_lshlrev_b32_e32 v6, 2, v6
	ds_load_b32 v4, v6
	global_store_b16 v[0:1], v7, off
	s_wait_dscnt 0x0
	global_store_b32 v[2:3], v4, off
	s_endpgm
	.section	.rodata,"a",@progbits
	.p2align	6, 0x0
	.amdhsa_kernel _Z21sort_keys_values_fullILj32ELj32ELj1ELb0E12hip_bfloat16iN10test_utils4lessEEvPT3_PT4_T5_
		.amdhsa_group_segment_fixed_size 132
		.amdhsa_private_segment_fixed_size 0
		.amdhsa_kernarg_size 20
		.amdhsa_user_sgpr_count 2
		.amdhsa_user_sgpr_dispatch_ptr 0
		.amdhsa_user_sgpr_queue_ptr 0
		.amdhsa_user_sgpr_kernarg_segment_ptr 1
		.amdhsa_user_sgpr_dispatch_id 0
		.amdhsa_user_sgpr_kernarg_preload_length 0
		.amdhsa_user_sgpr_kernarg_preload_offset 0
		.amdhsa_user_sgpr_private_segment_size 0
		.amdhsa_wavefront_size32 1
		.amdhsa_uses_dynamic_stack 0
		.amdhsa_enable_private_segment 0
		.amdhsa_system_sgpr_workgroup_id_x 1
		.amdhsa_system_sgpr_workgroup_id_y 0
		.amdhsa_system_sgpr_workgroup_id_z 0
		.amdhsa_system_sgpr_workgroup_info 0
		.amdhsa_system_vgpr_workitem_id 0
		.amdhsa_next_free_vgpr 19
		.amdhsa_next_free_sgpr 8
		.amdhsa_named_barrier_count 0
		.amdhsa_reserve_vcc 1
		.amdhsa_float_round_mode_32 0
		.amdhsa_float_round_mode_16_64 0
		.amdhsa_float_denorm_mode_32 3
		.amdhsa_float_denorm_mode_16_64 3
		.amdhsa_fp16_overflow 0
		.amdhsa_memory_ordered 1
		.amdhsa_forward_progress 1
		.amdhsa_inst_pref_size 15
		.amdhsa_round_robin_scheduling 0
		.amdhsa_exception_fp_ieee_invalid_op 0
		.amdhsa_exception_fp_denorm_src 0
		.amdhsa_exception_fp_ieee_div_zero 0
		.amdhsa_exception_fp_ieee_overflow 0
		.amdhsa_exception_fp_ieee_underflow 0
		.amdhsa_exception_fp_ieee_inexact 0
		.amdhsa_exception_int_div_zero 0
	.end_amdhsa_kernel
	.section	.text._Z21sort_keys_values_fullILj32ELj32ELj1ELb0E12hip_bfloat16iN10test_utils4lessEEvPT3_PT4_T5_,"axG",@progbits,_Z21sort_keys_values_fullILj32ELj32ELj1ELb0E12hip_bfloat16iN10test_utils4lessEEvPT3_PT4_T5_,comdat
.Lfunc_end38:
	.size	_Z21sort_keys_values_fullILj32ELj32ELj1ELb0E12hip_bfloat16iN10test_utils4lessEEvPT3_PT4_T5_, .Lfunc_end38-_Z21sort_keys_values_fullILj32ELj32ELj1ELb0E12hip_bfloat16iN10test_utils4lessEEvPT3_PT4_T5_
                                        ; -- End function
	.set _Z21sort_keys_values_fullILj32ELj32ELj1ELb0E12hip_bfloat16iN10test_utils4lessEEvPT3_PT4_T5_.num_vgpr, 19
	.set _Z21sort_keys_values_fullILj32ELj32ELj1ELb0E12hip_bfloat16iN10test_utils4lessEEvPT3_PT4_T5_.num_agpr, 0
	.set _Z21sort_keys_values_fullILj32ELj32ELj1ELb0E12hip_bfloat16iN10test_utils4lessEEvPT3_PT4_T5_.numbered_sgpr, 8
	.set _Z21sort_keys_values_fullILj32ELj32ELj1ELb0E12hip_bfloat16iN10test_utils4lessEEvPT3_PT4_T5_.num_named_barrier, 0
	.set _Z21sort_keys_values_fullILj32ELj32ELj1ELb0E12hip_bfloat16iN10test_utils4lessEEvPT3_PT4_T5_.private_seg_size, 0
	.set _Z21sort_keys_values_fullILj32ELj32ELj1ELb0E12hip_bfloat16iN10test_utils4lessEEvPT3_PT4_T5_.uses_vcc, 1
	.set _Z21sort_keys_values_fullILj32ELj32ELj1ELb0E12hip_bfloat16iN10test_utils4lessEEvPT3_PT4_T5_.uses_flat_scratch, 0
	.set _Z21sort_keys_values_fullILj32ELj32ELj1ELb0E12hip_bfloat16iN10test_utils4lessEEvPT3_PT4_T5_.has_dyn_sized_stack, 0
	.set _Z21sort_keys_values_fullILj32ELj32ELj1ELb0E12hip_bfloat16iN10test_utils4lessEEvPT3_PT4_T5_.has_recursion, 0
	.set _Z21sort_keys_values_fullILj32ELj32ELj1ELb0E12hip_bfloat16iN10test_utils4lessEEvPT3_PT4_T5_.has_indirect_call, 0
	.section	.AMDGPU.csdata,"",@progbits
; Kernel info:
; codeLenInByte = 1904
; TotalNumSgprs: 10
; NumVgprs: 19
; ScratchSize: 0
; MemoryBound: 0
; FloatMode: 240
; IeeeMode: 1
; LDSByteSize: 132 bytes/workgroup (compile time only)
; SGPRBlocks: 0
; VGPRBlocks: 1
; NumSGPRsForWavesPerEU: 10
; NumVGPRsForWavesPerEU: 19
; NamedBarCnt: 0
; Occupancy: 16
; WaveLimiterHint : 0
; COMPUTE_PGM_RSRC2:SCRATCH_EN: 0
; COMPUTE_PGM_RSRC2:USER_SGPR: 2
; COMPUTE_PGM_RSRC2:TRAP_HANDLER: 0
; COMPUTE_PGM_RSRC2:TGID_X_EN: 1
; COMPUTE_PGM_RSRC2:TGID_Y_EN: 0
; COMPUTE_PGM_RSRC2:TGID_Z_EN: 0
; COMPUTE_PGM_RSRC2:TIDIG_COMP_CNT: 0
	.section	.text._Z21sort_keys_values_fullILj32ELj32ELj1ELb0E6__halfiN10test_utils4lessEEvPT3_PT4_T5_,"axG",@progbits,_Z21sort_keys_values_fullILj32ELj32ELj1ELb0E6__halfiN10test_utils4lessEEvPT3_PT4_T5_,comdat
	.protected	_Z21sort_keys_values_fullILj32ELj32ELj1ELb0E6__halfiN10test_utils4lessEEvPT3_PT4_T5_ ; -- Begin function _Z21sort_keys_values_fullILj32ELj32ELj1ELb0E6__halfiN10test_utils4lessEEvPT3_PT4_T5_
	.globl	_Z21sort_keys_values_fullILj32ELj32ELj1ELb0E6__halfiN10test_utils4lessEEvPT3_PT4_T5_
	.p2align	8
	.type	_Z21sort_keys_values_fullILj32ELj32ELj1ELb0E6__halfiN10test_utils4lessEEvPT3_PT4_T5_,@function
_Z21sort_keys_values_fullILj32ELj32ELj1ELb0E6__halfiN10test_utils4lessEEvPT3_PT4_T5_: ; @_Z21sort_keys_values_fullILj32ELj32ELj1ELb0E6__halfiN10test_utils4lessEEvPT3_PT4_T5_
; %bb.0:
	s_load_b128 s[4:7], s[0:1], 0x0
	s_wait_xcnt 0x0
	s_bfe_u32 s0, ttmp6, 0x4000c
	s_and_b32 s1, ttmp6, 15
	s_add_co_i32 s0, s0, 1
	s_getreg_b32 s2, hwreg(HW_REG_IB_STS2, 6, 4)
	s_mul_i32 s0, ttmp9, s0
	s_mov_b32 s3, 0
	s_add_co_i32 s1, s1, s0
	s_cmp_eq_u32 s2, 0
	v_mbcnt_lo_u32_b32 v6, -1, 0
	s_cselect_b32 s0, ttmp9, s1
	v_mov_b32_e32 v3, 0
	s_lshl_b32 s2, s0, 5
	v_lshlrev_b32_e32 v2, 1, v0
	s_lshl_b64 s[0:1], s[2:3], 1
	v_dual_lshlrev_b32 v4, 2, v0 :: v_dual_bitop2_b32 v9, 30, v6 bitop3:0x40
	v_dual_mov_b32 v5, v3 :: v_dual_mov_b32 v12, v3
	s_delay_alu instid0(VALU_DEP_2)
	v_lshlrev_b32_e32 v13, 1, v9
	s_wait_kmcnt 0x0
	s_add_nc_u64 s[0:1], s[4:5], s[0:1]
	s_lshl_b64 s[4:5], s[2:3], 2
	global_load_u16 v1, v0, s[0:1] scale_offset
	s_add_nc_u64 s[4:5], s[6:7], s[4:5]
	v_or_b32_e32 v10, 1, v9
	global_load_b32 v8, v0, s[4:5] scale_offset
	v_and_b32_e32 v11, 1, v6
	s_mov_b32 s2, exec_lo
	v_sub_nc_u32_e32 v7, v10, v9
	; wave barrier
	s_wait_xcnt 0x0
	s_delay_alu instid0(VALU_DEP_1)
	v_dual_lshlrev_b32 v7, 1, v6 :: v_dual_min_i32 v0, v11, v7
	s_wait_loadcnt 0x1
	ds_store_b16 v7, v1
	; wave barrier
	v_cmpx_lt_i32_e32 0, v0
	s_cbranch_execz .LBB39_4
; %bb.1:
	v_dual_mov_b32 v0, 1 :: v_dual_mov_b32 v12, v3
	v_lshl_add_u32 v1, v11, 1, v13
.LBB39_2:                               ; =>This Inner Loop Header: Depth=1
	s_delay_alu instid0(VALU_DEP_2) | instskip(NEXT) | instid1(VALU_DEP_1)
	v_sub_nc_u32_e32 v14, v0, v12
	v_lshrrev_b32_e32 v14, 1, v14
	s_delay_alu instid0(VALU_DEP_1) | instskip(NEXT) | instid1(VALU_DEP_1)
	v_add_nc_u32_e32 v14, v14, v12
	v_not_b32_e32 v15, v14
	v_lshl_add_u32 v16, v14, 1, v13
	s_delay_alu instid0(VALU_DEP_2)
	v_lshl_add_u32 v15, v15, 1, v1
	ds_load_u16 v16, v16
	ds_load_u16 v15, v15 offset:2
	s_wait_dscnt 0x0
	v_cmp_lt_f16_e32 vcc_lo, v15, v16
	v_dual_cndmask_b32 v0, v0, v14 :: v_dual_add_nc_u32 v17, 1, v14
	s_delay_alu instid0(VALU_DEP_1) | instskip(NEXT) | instid1(VALU_DEP_1)
	v_cndmask_b32_e32 v12, v17, v12, vcc_lo
	v_cmp_ge_i32_e32 vcc_lo, v12, v0
	s_or_b32 s3, vcc_lo, s3
	s_delay_alu instid0(SALU_CYCLE_1)
	s_and_not1_b32 exec_lo, exec_lo, s3
	s_cbranch_execnz .LBB39_2
; %bb.3:
	s_or_b32 exec_lo, exec_lo, s3
.LBB39_4:
	s_delay_alu instid0(SALU_CYCLE_1)
	s_or_b32 exec_lo, exec_lo, s2
	v_add_nc_u64_e32 v[0:1], s[0:1], v[2:3]
	v_add_nc_u64_e32 v[2:3], s[4:5], v[4:5]
	v_dual_add_nc_u32 v4, v9, v11 :: v_dual_add_nc_u32 v11, v10, v11
	v_lshl_add_u32 v5, v12, 1, v13
	v_cmp_lt_i32_e32 vcc_lo, 0, v12
	v_add_nc_u32_e32 v9, v12, v9
	s_delay_alu instid0(VALU_DEP_4) | instskip(NEXT) | instid1(VALU_DEP_1)
	v_dual_sub_nc_u32 v4, v4, v12 :: v_dual_sub_nc_u32 v11, v11, v12
	v_lshlrev_b32_e32 v4, 1, v4
	s_delay_alu instid0(VALU_DEP_2)
	v_cmp_ge_i32_e64 s1, v10, v11
	ds_load_u16 v5, v5
	ds_load_u16 v4, v4 offset:2
	; wave barrier
	s_wait_dscnt 0x0
	v_cmp_lt_f16_e64 s0, v4, v5
	s_or_b32 s0, vcc_lo, s0
	s_delay_alu instid0(SALU_CYCLE_1)
	s_and_b32 vcc_lo, s1, s0
	s_mov_b32 s0, 0
	v_dual_cndmask_b32 v14, v5, v4, vcc_lo :: v_dual_add_nc_u32 v4, v7, v7
	v_dual_cndmask_b32 v5, v9, v11, vcc_lo :: v_dual_bitop2_b32 v9, 28, v6 bitop3:0x40
	v_and_b32_e32 v11, 3, v6
	s_mov_b32 s1, exec_lo
	s_wait_loadcnt 0x0
	ds_store_b32 v4, v8
	v_lshlrev_b32_e32 v5, 2, v5
	; wave barrier
	v_or_b32_e32 v10, 2, v9
	v_sub_nc_u32_e64 v8, v11, 2 clamp
	ds_load_b32 v5, v5
	; wave barrier
	v_sub_nc_u32_e32 v12, v10, v9
	ds_store_b16 v7, v14
	; wave barrier
	v_dual_lshlrev_b32 v12, 1, v9 :: v_dual_min_i32 v13, v11, v12
	s_delay_alu instid0(VALU_DEP_1)
	v_cmpx_lt_i32_e64 v8, v13
	s_cbranch_execz .LBB39_8
; %bb.5:
	s_delay_alu instid0(VALU_DEP_2)
	v_lshl_add_u32 v14, v11, 1, v12
.LBB39_6:                               ; =>This Inner Loop Header: Depth=1
	v_sub_nc_u32_e32 v15, v13, v8
	s_delay_alu instid0(VALU_DEP_1) | instskip(NEXT) | instid1(VALU_DEP_1)
	v_lshrrev_b32_e32 v15, 1, v15
	v_add_nc_u32_e32 v15, v15, v8
	s_delay_alu instid0(VALU_DEP_1) | instskip(SKIP_1) | instid1(VALU_DEP_2)
	v_not_b32_e32 v16, v15
	v_lshl_add_u32 v17, v15, 1, v12
	v_lshl_add_u32 v16, v16, 1, v14
	ds_load_u16 v17, v17
	ds_load_u16 v16, v16 offset:4
	s_wait_dscnt 0x0
	v_cmp_lt_f16_e32 vcc_lo, v16, v17
	v_dual_cndmask_b32 v13, v13, v15 :: v_dual_add_nc_u32 v18, 1, v15
	s_delay_alu instid0(VALU_DEP_1) | instskip(NEXT) | instid1(VALU_DEP_1)
	v_cndmask_b32_e32 v8, v18, v8, vcc_lo
	v_cmp_ge_i32_e32 vcc_lo, v8, v13
	s_or_b32 s0, vcc_lo, s0
	s_delay_alu instid0(SALU_CYCLE_1)
	s_and_not1_b32 exec_lo, exec_lo, s0
	s_cbranch_execnz .LBB39_6
; %bb.7:
	s_or_b32 exec_lo, exec_lo, s0
.LBB39_8:
	s_delay_alu instid0(SALU_CYCLE_1) | instskip(SKIP_3) | instid1(VALU_DEP_3)
	s_or_b32 exec_lo, exec_lo, s1
	v_dual_add_nc_u32 v13, v9, v11 :: v_dual_add_nc_u32 v10, v10, v11
	v_lshl_add_u32 v12, v8, 1, v12
	v_cmp_lt_i32_e32 vcc_lo, 1, v8
	v_dual_add_nc_u32 v11, 4, v9 :: v_dual_sub_nc_u32 v13, v13, v8
	s_delay_alu instid0(VALU_DEP_4) | instskip(NEXT) | instid1(VALU_DEP_2)
	v_dual_sub_nc_u32 v10, v10, v8 :: v_dual_add_nc_u32 v8, v8, v9
	v_lshlrev_b32_e32 v13, 1, v13
	ds_load_u16 v12, v12
	ds_load_u16 v13, v13 offset:4
	v_cmp_gt_i32_e64 s1, v11, v10
	; wave barrier
	s_wait_dscnt 0x3
	ds_store_b32 v4, v5
	; wave barrier
	s_wait_dscnt 0x1
	v_cmp_lt_f16_e64 s0, v13, v12
	s_or_b32 s0, vcc_lo, s0
	s_delay_alu instid0(SALU_CYCLE_1) | instskip(SKIP_4) | instid1(VALU_DEP_1)
	s_and_b32 vcc_lo, s1, s0
	s_mov_b32 s0, exec_lo
	v_cndmask_b32_e32 v14, v12, v13, vcc_lo
	v_cndmask_b32_e32 v9, v8, v10, vcc_lo
	v_and_b32_e32 v8, 24, v6
	v_dual_lshlrev_b32 v9, 2, v9 :: v_dual_bitop2_b32 v10, 4, v8 bitop3:0x54
	s_delay_alu instid0(VALU_DEP_1)
	v_dual_sub_nc_u32 v12, v10, v8 :: v_dual_bitop2_b32 v11, 7, v6 bitop3:0x40
	ds_load_b32 v5, v9
	v_sub_nc_u32_e64 v9, v11, 4 clamp
	; wave barrier
	v_min_i32_e32 v13, v11, v12
	v_lshlrev_b32_e32 v12, 1, v8
	ds_store_b16 v7, v14
	; wave barrier
	v_cmpx_lt_i32_e64 v9, v13
	s_cbranch_execz .LBB39_12
; %bb.9:
	v_lshl_add_u32 v14, v11, 1, v12
	s_mov_b32 s1, 0
.LBB39_10:                              ; =>This Inner Loop Header: Depth=1
	v_sub_nc_u32_e32 v15, v13, v9
	s_delay_alu instid0(VALU_DEP_1) | instskip(NEXT) | instid1(VALU_DEP_1)
	v_lshrrev_b32_e32 v15, 1, v15
	v_add_nc_u32_e32 v15, v15, v9
	s_delay_alu instid0(VALU_DEP_1) | instskip(SKIP_1) | instid1(VALU_DEP_2)
	v_not_b32_e32 v16, v15
	v_lshl_add_u32 v17, v15, 1, v12
	v_lshl_add_u32 v16, v16, 1, v14
	ds_load_u16 v17, v17
	ds_load_u16 v16, v16 offset:8
	s_wait_dscnt 0x0
	v_cmp_lt_f16_e32 vcc_lo, v16, v17
	v_dual_cndmask_b32 v13, v13, v15 :: v_dual_add_nc_u32 v18, 1, v15
	s_delay_alu instid0(VALU_DEP_1) | instskip(NEXT) | instid1(VALU_DEP_1)
	v_cndmask_b32_e32 v9, v18, v9, vcc_lo
	v_cmp_ge_i32_e32 vcc_lo, v9, v13
	s_or_b32 s1, vcc_lo, s1
	s_delay_alu instid0(SALU_CYCLE_1)
	s_and_not1_b32 exec_lo, exec_lo, s1
	s_cbranch_execnz .LBB39_10
; %bb.11:
	s_or_b32 exec_lo, exec_lo, s1
.LBB39_12:
	s_delay_alu instid0(SALU_CYCLE_1) | instskip(SKIP_3) | instid1(VALU_DEP_3)
	s_or_b32 exec_lo, exec_lo, s0
	v_dual_add_nc_u32 v13, v8, v11 :: v_dual_add_nc_u32 v10, v10, v11
	v_lshl_add_u32 v12, v9, 1, v12
	v_cmp_lt_i32_e32 vcc_lo, 3, v9
	v_dual_add_nc_u32 v11, 8, v8 :: v_dual_sub_nc_u32 v13, v13, v9
	s_delay_alu instid0(VALU_DEP_4) | instskip(NEXT) | instid1(VALU_DEP_2)
	v_dual_sub_nc_u32 v10, v10, v9 :: v_dual_add_nc_u32 v8, v9, v8
	v_lshlrev_b32_e32 v13, 1, v13
	s_delay_alu instid0(VALU_DEP_2)
	v_cmp_gt_i32_e64 s1, v11, v10
	ds_load_u16 v12, v12
	ds_load_u16 v13, v13 offset:8
	; wave barrier
	s_wait_dscnt 0x3
	ds_store_b32 v4, v5
	; wave barrier
	v_and_b32_e32 v11, 15, v6
	s_wait_dscnt 0x1
	v_cmp_lt_f16_e64 s0, v13, v12
	s_or_b32 s0, vcc_lo, s0
	s_delay_alu instid0(SALU_CYCLE_1) | instskip(SKIP_3) | instid1(VALU_DEP_1)
	s_and_b32 vcc_lo, s1, s0
	s_mov_b32 s0, exec_lo
	v_cndmask_b32_e32 v9, v8, v10, vcc_lo
	v_dual_cndmask_b32 v14, v12, v13, vcc_lo :: v_dual_bitop2_b32 v8, 16, v6 bitop3:0x40
	v_or_b32_e32 v10, 8, v8
	s_delay_alu instid0(VALU_DEP_1) | instskip(NEXT) | instid1(VALU_DEP_1)
	v_dual_sub_nc_u32 v12, v10, v8 :: v_dual_lshlrev_b32 v9, 2, v9
	v_min_i32_e32 v13, v11, v12
	ds_load_b32 v5, v9
	v_sub_nc_u32_e64 v9, v11, 8 clamp
	v_lshlrev_b32_e32 v12, 1, v8
	; wave barrier
	ds_store_b16 v7, v14
	; wave barrier
	v_cmpx_lt_i32_e64 v9, v13
	s_cbranch_execz .LBB39_16
; %bb.13:
	v_lshl_add_u32 v14, v11, 1, v12
	s_mov_b32 s1, 0
.LBB39_14:                              ; =>This Inner Loop Header: Depth=1
	v_sub_nc_u32_e32 v15, v13, v9
	s_delay_alu instid0(VALU_DEP_1) | instskip(NEXT) | instid1(VALU_DEP_1)
	v_lshrrev_b32_e32 v15, 1, v15
	v_add_nc_u32_e32 v15, v15, v9
	s_delay_alu instid0(VALU_DEP_1) | instskip(SKIP_1) | instid1(VALU_DEP_2)
	v_not_b32_e32 v16, v15
	v_lshl_add_u32 v17, v15, 1, v12
	v_lshl_add_u32 v16, v16, 1, v14
	ds_load_u16 v17, v17
	ds_load_u16 v16, v16 offset:16
	s_wait_dscnt 0x0
	v_cmp_lt_f16_e32 vcc_lo, v16, v17
	v_dual_cndmask_b32 v13, v13, v15 :: v_dual_add_nc_u32 v18, 1, v15
	s_delay_alu instid0(VALU_DEP_1) | instskip(NEXT) | instid1(VALU_DEP_1)
	v_cndmask_b32_e32 v9, v18, v9, vcc_lo
	v_cmp_ge_i32_e32 vcc_lo, v9, v13
	s_or_b32 s1, vcc_lo, s1
	s_delay_alu instid0(SALU_CYCLE_1)
	s_and_not1_b32 exec_lo, exec_lo, s1
	s_cbranch_execnz .LBB39_14
; %bb.15:
	s_or_b32 exec_lo, exec_lo, s1
.LBB39_16:
	s_delay_alu instid0(SALU_CYCLE_1) | instskip(SKIP_3) | instid1(VALU_DEP_3)
	s_or_b32 exec_lo, exec_lo, s0
	v_dual_add_nc_u32 v13, v8, v11 :: v_dual_add_nc_u32 v10, v10, v11
	v_lshl_add_u32 v12, v9, 1, v12
	v_cmp_lt_i32_e32 vcc_lo, 7, v9
	v_dual_add_nc_u32 v11, 16, v8 :: v_dual_sub_nc_u32 v13, v13, v9
	s_delay_alu instid0(VALU_DEP_4) | instskip(SKIP_1) | instid1(VALU_DEP_3)
	v_dual_sub_nc_u32 v10, v10, v9 :: v_dual_add_nc_u32 v8, v9, v8
	v_min_u32_e32 v9, 16, v6
	v_lshlrev_b32_e32 v13, 1, v13
	s_delay_alu instid0(VALU_DEP_3)
	v_cmp_gt_i32_e64 s1, v11, v10
	ds_load_u16 v12, v12
	ds_load_u16 v13, v13 offset:16
	; wave barrier
	s_wait_dscnt 0x3
	ds_store_b32 v4, v5
	; wave barrier
	s_wait_dscnt 0x1
	v_cmp_lt_f16_e64 s0, v13, v12
	s_or_b32 s0, vcc_lo, s0
	s_delay_alu instid0(SALU_CYCLE_1) | instskip(SKIP_2) | instid1(VALU_DEP_1)
	s_and_b32 vcc_lo, s1, s0
	s_mov_b32 s0, exec_lo
	v_cndmask_b32_e32 v8, v8, v10, vcc_lo
	v_dual_cndmask_b32 v11, v12, v13 :: v_dual_lshlrev_b32 v8, 2, v8
	ds_load_b32 v5, v8
	v_sub_nc_u32_e64 v8, v6, 16 clamp
	; wave barrier
	ds_store_b16 v7, v11
	; wave barrier
	v_cmpx_lt_u32_e64 v8, v9
	s_cbranch_execz .LBB39_20
; %bb.17:
	s_mov_b32 s1, 0
.LBB39_18:                              ; =>This Inner Loop Header: Depth=1
	v_sub_nc_u32_e32 v10, v9, v8
	s_delay_alu instid0(VALU_DEP_1) | instskip(NEXT) | instid1(VALU_DEP_1)
	v_lshrrev_b32_e32 v10, 1, v10
	v_add_nc_u32_e32 v10, v10, v8
	s_delay_alu instid0(VALU_DEP_1) | instskip(SKIP_1) | instid1(VALU_DEP_2)
	v_not_b32_e32 v11, v10
	v_dual_lshlrev_b32 v12, 1, v10 :: v_dual_add_nc_u32 v13, 1, v10
	v_lshl_add_u32 v11, v11, 1, v7
	ds_load_u16 v12, v12
	ds_load_u16 v11, v11 offset:32
	s_wait_dscnt 0x0
	v_cmp_lt_f16_e32 vcc_lo, v11, v12
	v_cndmask_b32_e32 v9, v9, v10, vcc_lo
	v_cndmask_b32_e32 v8, v13, v8, vcc_lo
	s_delay_alu instid0(VALU_DEP_1) | instskip(SKIP_1) | instid1(SALU_CYCLE_1)
	v_cmp_ge_i32_e32 vcc_lo, v8, v9
	s_or_b32 s1, vcc_lo, s1
	s_and_not1_b32 exec_lo, exec_lo, s1
	s_cbranch_execnz .LBB39_18
; %bb.19:
	s_or_b32 exec_lo, exec_lo, s1
.LBB39_20:
	s_delay_alu instid0(SALU_CYCLE_1) | instskip(SKIP_2) | instid1(VALU_DEP_2)
	s_or_b32 exec_lo, exec_lo, s0
	v_dual_sub_nc_u32 v6, v6, v8 :: v_dual_lshlrev_b32 v7, 1, v8
	v_cmp_lt_i32_e32 vcc_lo, 15, v8
	v_dual_lshlrev_b32 v9, 1, v6 :: v_dual_add_nc_u32 v6, 16, v6
	ds_load_u16 v7, v7
	ds_load_u16 v9, v9 offset:32
	v_cmp_gt_i32_e64 s1, 32, v6
	; wave barrier
	s_wait_dscnt 0x3
	ds_store_b32 v4, v5
	; wave barrier
	s_wait_dscnt 0x1
	v_cmp_lt_f16_e64 s0, v9, v7
	s_or_b32 s0, vcc_lo, s0
	s_delay_alu instid0(SALU_CYCLE_1) | instskip(SKIP_1) | instid1(VALU_DEP_1)
	s_and_b32 vcc_lo, s1, s0
	v_dual_cndmask_b32 v7, v7, v9 :: v_dual_cndmask_b32 v6, v8, v6
	v_lshlrev_b32_e32 v6, 2, v6
	ds_load_b32 v4, v6
	global_store_b16 v[0:1], v7, off
	s_wait_dscnt 0x0
	global_store_b32 v[2:3], v4, off
	s_endpgm
	.section	.rodata,"a",@progbits
	.p2align	6, 0x0
	.amdhsa_kernel _Z21sort_keys_values_fullILj32ELj32ELj1ELb0E6__halfiN10test_utils4lessEEvPT3_PT4_T5_
		.amdhsa_group_segment_fixed_size 132
		.amdhsa_private_segment_fixed_size 0
		.amdhsa_kernarg_size 20
		.amdhsa_user_sgpr_count 2
		.amdhsa_user_sgpr_dispatch_ptr 0
		.amdhsa_user_sgpr_queue_ptr 0
		.amdhsa_user_sgpr_kernarg_segment_ptr 1
		.amdhsa_user_sgpr_dispatch_id 0
		.amdhsa_user_sgpr_kernarg_preload_length 0
		.amdhsa_user_sgpr_kernarg_preload_offset 0
		.amdhsa_user_sgpr_private_segment_size 0
		.amdhsa_wavefront_size32 1
		.amdhsa_uses_dynamic_stack 0
		.amdhsa_enable_private_segment 0
		.amdhsa_system_sgpr_workgroup_id_x 1
		.amdhsa_system_sgpr_workgroup_id_y 0
		.amdhsa_system_sgpr_workgroup_id_z 0
		.amdhsa_system_sgpr_workgroup_info 0
		.amdhsa_system_vgpr_workitem_id 0
		.amdhsa_next_free_vgpr 19
		.amdhsa_next_free_sgpr 8
		.amdhsa_named_barrier_count 0
		.amdhsa_reserve_vcc 1
		.amdhsa_float_round_mode_32 0
		.amdhsa_float_round_mode_16_64 0
		.amdhsa_float_denorm_mode_32 3
		.amdhsa_float_denorm_mode_16_64 3
		.amdhsa_fp16_overflow 0
		.amdhsa_memory_ordered 1
		.amdhsa_forward_progress 1
		.amdhsa_inst_pref_size 14
		.amdhsa_round_robin_scheduling 0
		.amdhsa_exception_fp_ieee_invalid_op 0
		.amdhsa_exception_fp_denorm_src 0
		.amdhsa_exception_fp_ieee_div_zero 0
		.amdhsa_exception_fp_ieee_overflow 0
		.amdhsa_exception_fp_ieee_underflow 0
		.amdhsa_exception_fp_ieee_inexact 0
		.amdhsa_exception_int_div_zero 0
	.end_amdhsa_kernel
	.section	.text._Z21sort_keys_values_fullILj32ELj32ELj1ELb0E6__halfiN10test_utils4lessEEvPT3_PT4_T5_,"axG",@progbits,_Z21sort_keys_values_fullILj32ELj32ELj1ELb0E6__halfiN10test_utils4lessEEvPT3_PT4_T5_,comdat
.Lfunc_end39:
	.size	_Z21sort_keys_values_fullILj32ELj32ELj1ELb0E6__halfiN10test_utils4lessEEvPT3_PT4_T5_, .Lfunc_end39-_Z21sort_keys_values_fullILj32ELj32ELj1ELb0E6__halfiN10test_utils4lessEEvPT3_PT4_T5_
                                        ; -- End function
	.set _Z21sort_keys_values_fullILj32ELj32ELj1ELb0E6__halfiN10test_utils4lessEEvPT3_PT4_T5_.num_vgpr, 19
	.set _Z21sort_keys_values_fullILj32ELj32ELj1ELb0E6__halfiN10test_utils4lessEEvPT3_PT4_T5_.num_agpr, 0
	.set _Z21sort_keys_values_fullILj32ELj32ELj1ELb0E6__halfiN10test_utils4lessEEvPT3_PT4_T5_.numbered_sgpr, 8
	.set _Z21sort_keys_values_fullILj32ELj32ELj1ELb0E6__halfiN10test_utils4lessEEvPT3_PT4_T5_.num_named_barrier, 0
	.set _Z21sort_keys_values_fullILj32ELj32ELj1ELb0E6__halfiN10test_utils4lessEEvPT3_PT4_T5_.private_seg_size, 0
	.set _Z21sort_keys_values_fullILj32ELj32ELj1ELb0E6__halfiN10test_utils4lessEEvPT3_PT4_T5_.uses_vcc, 1
	.set _Z21sort_keys_values_fullILj32ELj32ELj1ELb0E6__halfiN10test_utils4lessEEvPT3_PT4_T5_.uses_flat_scratch, 0
	.set _Z21sort_keys_values_fullILj32ELj32ELj1ELb0E6__halfiN10test_utils4lessEEvPT3_PT4_T5_.has_dyn_sized_stack, 0
	.set _Z21sort_keys_values_fullILj32ELj32ELj1ELb0E6__halfiN10test_utils4lessEEvPT3_PT4_T5_.has_recursion, 0
	.set _Z21sort_keys_values_fullILj32ELj32ELj1ELb0E6__halfiN10test_utils4lessEEvPT3_PT4_T5_.has_indirect_call, 0
	.section	.AMDGPU.csdata,"",@progbits
; Kernel info:
; codeLenInByte = 1768
; TotalNumSgprs: 10
; NumVgprs: 19
; ScratchSize: 0
; MemoryBound: 0
; FloatMode: 240
; IeeeMode: 1
; LDSByteSize: 132 bytes/workgroup (compile time only)
; SGPRBlocks: 0
; VGPRBlocks: 1
; NumSGPRsForWavesPerEU: 10
; NumVGPRsForWavesPerEU: 19
; NamedBarCnt: 0
; Occupancy: 16
; WaveLimiterHint : 0
; COMPUTE_PGM_RSRC2:SCRATCH_EN: 0
; COMPUTE_PGM_RSRC2:USER_SGPR: 2
; COMPUTE_PGM_RSRC2:TRAP_HANDLER: 0
; COMPUTE_PGM_RSRC2:TGID_X_EN: 1
; COMPUTE_PGM_RSRC2:TGID_Y_EN: 0
; COMPUTE_PGM_RSRC2:TGID_Z_EN: 0
; COMPUTE_PGM_RSRC2:TIDIG_COMP_CNT: 0
	.section	.text._Z21sort_keys_values_fullILj512ELj64ELj1ELb0EsiN10test_utils4lessEEvPT3_PT4_T5_,"axG",@progbits,_Z21sort_keys_values_fullILj512ELj64ELj1ELb0EsiN10test_utils4lessEEvPT3_PT4_T5_,comdat
	.protected	_Z21sort_keys_values_fullILj512ELj64ELj1ELb0EsiN10test_utils4lessEEvPT3_PT4_T5_ ; -- Begin function _Z21sort_keys_values_fullILj512ELj64ELj1ELb0EsiN10test_utils4lessEEvPT3_PT4_T5_
	.globl	_Z21sort_keys_values_fullILj512ELj64ELj1ELb0EsiN10test_utils4lessEEvPT3_PT4_T5_
	.p2align	8
	.type	_Z21sort_keys_values_fullILj512ELj64ELj1ELb0EsiN10test_utils4lessEEvPT3_PT4_T5_,@function
_Z21sort_keys_values_fullILj512ELj64ELj1ELb0EsiN10test_utils4lessEEvPT3_PT4_T5_: ; @_Z21sort_keys_values_fullILj512ELj64ELj1ELb0EsiN10test_utils4lessEEvPT3_PT4_T5_
; %bb.0:
	s_load_b128 s[4:7], s[0:1], 0x0
	s_wait_xcnt 0x0
	s_bfe_u32 s0, ttmp6, 0x4000c
	s_and_b32 s1, ttmp6, 15
	s_add_co_i32 s0, s0, 1
	s_getreg_b32 s2, hwreg(HW_REG_IB_STS2, 6, 4)
	s_mul_i32 s0, ttmp9, s0
	s_mov_b32 s3, 0
	s_add_co_i32 s1, s1, s0
	s_cmp_eq_u32 s2, 0
	v_mbcnt_lo_u32_b32 v6, -1, 0
	s_cselect_b32 s0, ttmp9, s1
	v_mov_b32_e32 v3, 0
	s_lshl_b32 s2, s0, 9
	s_delay_alu instid0(VALU_DEP_2)
	v_dual_lshlrev_b32 v2, 1, v0 :: v_dual_bitop2_b32 v13, 1, v6 bitop3:0x40
	s_lshl_b64 s[0:1], s[2:3], 1
	v_dual_lshlrev_b32 v4, 2, v0 :: v_dual_bitop2_b32 v11, 30, v6 bitop3:0x40
	v_dual_mov_b32 v5, v3 :: v_dual_lshrrev_b32 v15, 6, v0
	s_wait_kmcnt 0x0
	s_add_nc_u64 s[0:1], s[4:5], s[0:1]
	s_lshl_b64 s[4:5], s[2:3], 2
	global_load_u16 v1, v0, s[0:1] scale_offset
	s_add_nc_u64 s[4:5], s[6:7], s[4:5]
	v_or_b32_e32 v12, 1, v11
	global_load_b32 v10, v0, s[4:5] scale_offset
	s_wait_xcnt 0x0
	v_dual_add_nc_u32 v0, -1, v13 :: v_dual_lshlrev_b32 v8, 1, v6
	v_dual_lshlrev_b32 v16, 1, v11 :: v_dual_sub_nc_u32 v7, v12, v11
	v_cmp_lt_i32_e32 vcc_lo, 0, v13
	s_mov_b32 s2, exec_lo
	s_delay_alu instid0(VALU_DEP_3) | instskip(NEXT) | instid1(VALU_DEP_3)
	v_mad_u32_u24 v9, 0x104, v15, v8
	; wave barrier
	v_dual_cndmask_b32 v14, 0, v0, vcc_lo :: v_dual_min_i32 v0, v13, v7
	v_mul_u32_u24_e32 v7, 0x104, v15
	v_mad_u32_u24 v15, 0x104, v15, v16
	s_wait_loadcnt 0x1
	ds_store_b16 v9, v1
	; wave barrier
	v_cmpx_lt_i32_e64 v14, v0
	s_cbranch_execz .LBB40_4
; %bb.1:
	v_dual_lshlrev_b32 v1, 1, v12 :: v_dual_lshlrev_b32 v16, 1, v13
	s_delay_alu instid0(VALU_DEP_1)
	v_add3_u32 v1, v7, v1, v16
.LBB40_2:                               ; =>This Inner Loop Header: Depth=1
	v_sub_nc_u32_e32 v16, v0, v14
	s_delay_alu instid0(VALU_DEP_1) | instskip(NEXT) | instid1(VALU_DEP_1)
	v_lshrrev_b32_e32 v16, 1, v16
	v_add_nc_u32_e32 v16, v16, v14
	s_delay_alu instid0(VALU_DEP_1) | instskip(SKIP_1) | instid1(VALU_DEP_2)
	v_not_b32_e32 v17, v16
	v_lshl_add_u32 v18, v16, 1, v15
	v_lshl_add_u32 v17, v17, 1, v1
	ds_load_u16 v18, v18
	ds_load_u16 v17, v17
	s_wait_dscnt 0x0
	v_cmp_lt_i16_e32 vcc_lo, v17, v18
	v_dual_cndmask_b32 v0, v0, v16 :: v_dual_add_nc_u32 v19, 1, v16
	s_delay_alu instid0(VALU_DEP_1) | instskip(NEXT) | instid1(VALU_DEP_1)
	v_cndmask_b32_e32 v14, v19, v14, vcc_lo
	v_cmp_ge_i32_e32 vcc_lo, v14, v0
	s_or_b32 s3, vcc_lo, s3
	s_delay_alu instid0(SALU_CYCLE_1)
	s_and_not1_b32 exec_lo, exec_lo, s3
	s_cbranch_execnz .LBB40_2
; %bb.3:
	s_or_b32 exec_lo, exec_lo, s3
.LBB40_4:
	s_delay_alu instid0(SALU_CYCLE_1) | instskip(SKIP_3) | instid1(VALU_DEP_1)
	s_or_b32 exec_lo, exec_lo, s2
	v_add_nc_u64_e32 v[0:1], s[0:1], v[2:3]
	v_add_nc_u64_e32 v[2:3], s[4:5], v[4:5]
	v_add_nc_u32_e32 v4, v12, v13
	v_sub_nc_u32_e32 v5, v4, v14
	v_lshl_add_u32 v4, v14, 1, v15
	v_add_nc_u32_e32 v14, v14, v11
	s_delay_alu instid0(VALU_DEP_3)
	v_lshl_add_u32 v13, v5, 1, v7
	ds_load_u16 v15, v4
	ds_load_u16 v13, v13
	v_cmp_le_i32_e32 vcc_lo, v12, v14
	v_add_nc_u32_e32 v4, v9, v8
	v_cmp_ge_i32_e64 s1, v12, v5
	; wave barrier
	s_wait_loadcnt 0x0
	ds_store_b32 v4, v10
	; wave barrier
	s_wait_dscnt 0x1
	v_cmp_lt_i16_e64 s0, v13, v15
	s_or_b32 s0, vcc_lo, s0
	s_delay_alu instid0(SALU_CYCLE_1) | instskip(NEXT) | instid1(SALU_CYCLE_1)
	s_and_b32 vcc_lo, s1, s0
	v_dual_cndmask_b32 v17, v15, v13, vcc_lo :: v_dual_bitop2_b32 v11, 28, v6 bitop3:0x40
	v_dual_cndmask_b32 v5, v14, v5, vcc_lo :: v_dual_bitop2_b32 v13, 3, v6 bitop3:0x40
	s_mov_b32 s1, 0
	s_delay_alu instid0(VALU_DEP_2) | instskip(NEXT) | instid1(VALU_DEP_2)
	v_dual_add_nc_u32 v10, 4, v11 :: v_dual_bitop2_b32 v12, 2, v11 bitop3:0x54
	v_lshl_add_u32 v5, v5, 2, v7
	s_mov_b32 s0, exec_lo
	s_delay_alu instid0(VALU_DEP_2)
	v_dual_sub_nc_u32 v16, v12, v11 :: v_dual_sub_nc_u32 v14, v10, v12
	ds_load_b32 v5, v5
	; wave barrier
	v_dual_sub_nc_u32 v15, v13, v14 :: v_dual_min_i32 v16, v13, v16
	v_cmp_ge_i32_e32 vcc_lo, v13, v14
	ds_store_b16 v9, v17
	; wave barrier
	v_cndmask_b32_e32 v14, 0, v15, vcc_lo
	v_lshl_add_u32 v15, v11, 1, v7
	s_delay_alu instid0(VALU_DEP_2)
	v_cmpx_lt_i32_e64 v14, v16
	s_cbranch_execz .LBB40_8
; %bb.5:
	v_dual_lshlrev_b32 v17, 1, v12 :: v_dual_lshlrev_b32 v18, 1, v13
	s_delay_alu instid0(VALU_DEP_1)
	v_add3_u32 v17, v7, v17, v18
.LBB40_6:                               ; =>This Inner Loop Header: Depth=1
	v_sub_nc_u32_e32 v18, v16, v14
	s_delay_alu instid0(VALU_DEP_1) | instskip(NEXT) | instid1(VALU_DEP_1)
	v_lshrrev_b32_e32 v18, 1, v18
	v_add_nc_u32_e32 v18, v18, v14
	s_delay_alu instid0(VALU_DEP_1) | instskip(SKIP_1) | instid1(VALU_DEP_2)
	v_not_b32_e32 v19, v18
	v_lshl_add_u32 v20, v18, 1, v15
	v_lshl_add_u32 v19, v19, 1, v17
	ds_load_u16 v20, v20
	ds_load_u16 v19, v19
	s_wait_dscnt 0x0
	v_cmp_lt_i16_e32 vcc_lo, v19, v20
	v_dual_cndmask_b32 v16, v16, v18 :: v_dual_add_nc_u32 v21, 1, v18
	s_delay_alu instid0(VALU_DEP_1) | instskip(NEXT) | instid1(VALU_DEP_1)
	v_cndmask_b32_e32 v14, v21, v14, vcc_lo
	v_cmp_ge_i32_e32 vcc_lo, v14, v16
	s_or_b32 s1, vcc_lo, s1
	s_delay_alu instid0(SALU_CYCLE_1)
	s_and_not1_b32 exec_lo, exec_lo, s1
	s_cbranch_execnz .LBB40_6
; %bb.7:
	s_or_b32 exec_lo, exec_lo, s1
.LBB40_8:
	s_delay_alu instid0(SALU_CYCLE_1) | instskip(SKIP_2) | instid1(VALU_DEP_2)
	s_or_b32 exec_lo, exec_lo, s0
	v_dual_add_nc_u32 v13, v12, v13 :: v_dual_add_nc_u32 v11, v14, v11
	v_lshl_add_u32 v15, v14, 1, v15
	v_sub_nc_u32_e32 v13, v13, v14
	s_delay_alu instid0(VALU_DEP_3) | instskip(NEXT) | instid1(VALU_DEP_2)
	v_cmp_le_i32_e32 vcc_lo, v12, v11
	v_lshl_add_u32 v16, v13, 1, v7
	v_cmp_gt_i32_e64 s1, v10, v13
	ds_load_u16 v15, v15
	ds_load_u16 v16, v16
	; wave barrier
	s_wait_dscnt 0x3
	ds_store_b32 v4, v5
	; wave barrier
	s_wait_dscnt 0x1
	v_cmp_lt_i16_e64 s0, v16, v15
	s_or_b32 s0, vcc_lo, s0
	s_delay_alu instid0(SALU_CYCLE_1) | instskip(SKIP_4) | instid1(VALU_DEP_2)
	s_and_b32 vcc_lo, s1, s0
	s_mov_b32 s1, 0
	v_dual_cndmask_b32 v17, v15, v16, vcc_lo :: v_dual_bitop2_b32 v10, 24, v6 bitop3:0x40
	v_cndmask_b32_e32 v13, v11, v13, vcc_lo
	s_mov_b32 s0, exec_lo
	v_dual_add_nc_u32 v11, 8, v10 :: v_dual_bitop2_b32 v12, 4, v10 bitop3:0x54
	s_delay_alu instid0(VALU_DEP_2) | instskip(NEXT) | instid1(VALU_DEP_2)
	v_lshl_add_u32 v5, v13, 2, v7
	v_dual_sub_nc_u32 v14, v11, v12 :: v_dual_bitop2_b32 v13, 7, v6 bitop3:0x40
	ds_load_b32 v5, v5
	; wave barrier
	ds_store_b16 v9, v17
	v_cmp_ge_i32_e32 vcc_lo, v13, v14
	v_sub_nc_u32_e32 v16, v12, v10
	v_sub_nc_u32_e32 v15, v13, v14
	; wave barrier
	s_delay_alu instid0(VALU_DEP_1) | instskip(SKIP_1) | instid1(VALU_DEP_2)
	v_dual_cndmask_b32 v14, 0, v15, vcc_lo :: v_dual_min_i32 v16, v13, v16
	v_lshl_add_u32 v15, v10, 1, v7
	v_cmpx_lt_i32_e64 v14, v16
	s_cbranch_execz .LBB40_12
; %bb.9:
	v_dual_lshlrev_b32 v17, 1, v12 :: v_dual_lshlrev_b32 v18, 1, v13
	s_delay_alu instid0(VALU_DEP_1)
	v_add3_u32 v17, v7, v17, v18
.LBB40_10:                              ; =>This Inner Loop Header: Depth=1
	v_sub_nc_u32_e32 v18, v16, v14
	s_delay_alu instid0(VALU_DEP_1) | instskip(NEXT) | instid1(VALU_DEP_1)
	v_lshrrev_b32_e32 v18, 1, v18
	v_add_nc_u32_e32 v18, v18, v14
	s_delay_alu instid0(VALU_DEP_1) | instskip(SKIP_1) | instid1(VALU_DEP_2)
	v_not_b32_e32 v19, v18
	v_lshl_add_u32 v20, v18, 1, v15
	v_lshl_add_u32 v19, v19, 1, v17
	ds_load_u16 v20, v20
	ds_load_u16 v19, v19
	s_wait_dscnt 0x0
	v_cmp_lt_i16_e32 vcc_lo, v19, v20
	v_dual_cndmask_b32 v16, v16, v18 :: v_dual_add_nc_u32 v21, 1, v18
	s_delay_alu instid0(VALU_DEP_1) | instskip(NEXT) | instid1(VALU_DEP_1)
	v_cndmask_b32_e32 v14, v21, v14, vcc_lo
	v_cmp_ge_i32_e32 vcc_lo, v14, v16
	s_or_b32 s1, vcc_lo, s1
	s_delay_alu instid0(SALU_CYCLE_1)
	s_and_not1_b32 exec_lo, exec_lo, s1
	s_cbranch_execnz .LBB40_10
; %bb.11:
	s_or_b32 exec_lo, exec_lo, s1
.LBB40_12:
	s_delay_alu instid0(SALU_CYCLE_1) | instskip(SKIP_2) | instid1(VALU_DEP_2)
	s_or_b32 exec_lo, exec_lo, s0
	v_add_nc_u32_e32 v13, v12, v13
	v_lshl_add_u32 v15, v14, 1, v15
	v_sub_nc_u32_e32 v13, v13, v14
	v_add_nc_u32_e32 v14, v14, v10
	s_delay_alu instid0(VALU_DEP_2) | instskip(NEXT) | instid1(VALU_DEP_2)
	v_lshl_add_u32 v16, v13, 1, v7
	v_cmp_le_i32_e32 vcc_lo, v12, v14
	v_cmp_gt_i32_e64 s1, v11, v13
	ds_load_u16 v15, v15
	ds_load_u16 v16, v16
	; wave barrier
	s_wait_dscnt 0x3
	ds_store_b32 v4, v5
	; wave barrier
	s_wait_dscnt 0x1
	v_cmp_lt_i16_e64 s0, v16, v15
	s_or_b32 s0, vcc_lo, s0
	s_delay_alu instid0(SALU_CYCLE_1) | instskip(SKIP_4) | instid1(VALU_DEP_2)
	s_and_b32 vcc_lo, s1, s0
	s_mov_b32 s1, 0
	v_dual_cndmask_b32 v17, v15, v16, vcc_lo :: v_dual_bitop2_b32 v10, 16, v6 bitop3:0x40
	v_cndmask_b32_e32 v13, v14, v13, vcc_lo
	s_mov_b32 s0, exec_lo
	v_dual_add_nc_u32 v11, 16, v10 :: v_dual_bitop2_b32 v12, 8, v10 bitop3:0x54
	s_delay_alu instid0(VALU_DEP_2) | instskip(NEXT) | instid1(VALU_DEP_2)
	v_lshl_add_u32 v5, v13, 2, v7
	v_dual_sub_nc_u32 v14, v11, v12 :: v_dual_bitop2_b32 v13, 15, v6 bitop3:0x40
	ds_load_b32 v5, v5
	; wave barrier
	ds_store_b16 v9, v17
	v_cmp_ge_i32_e32 vcc_lo, v13, v14
	v_sub_nc_u32_e32 v16, v12, v10
	v_sub_nc_u32_e32 v15, v13, v14
	; wave barrier
	s_delay_alu instid0(VALU_DEP_1) | instskip(SKIP_1) | instid1(VALU_DEP_2)
	v_dual_cndmask_b32 v14, 0, v15, vcc_lo :: v_dual_min_i32 v16, v13, v16
	v_lshl_add_u32 v15, v10, 1, v7
	v_cmpx_lt_i32_e64 v14, v16
	s_cbranch_execz .LBB40_16
; %bb.13:
	v_dual_lshlrev_b32 v17, 1, v12 :: v_dual_lshlrev_b32 v18, 1, v13
	s_delay_alu instid0(VALU_DEP_1)
	v_add3_u32 v17, v7, v17, v18
.LBB40_14:                              ; =>This Inner Loop Header: Depth=1
	v_sub_nc_u32_e32 v18, v16, v14
	s_delay_alu instid0(VALU_DEP_1) | instskip(NEXT) | instid1(VALU_DEP_1)
	v_lshrrev_b32_e32 v18, 1, v18
	v_add_nc_u32_e32 v18, v18, v14
	s_delay_alu instid0(VALU_DEP_1) | instskip(SKIP_1) | instid1(VALU_DEP_2)
	v_not_b32_e32 v19, v18
	v_lshl_add_u32 v20, v18, 1, v15
	v_lshl_add_u32 v19, v19, 1, v17
	ds_load_u16 v20, v20
	ds_load_u16 v19, v19
	s_wait_dscnt 0x0
	v_cmp_lt_i16_e32 vcc_lo, v19, v20
	v_dual_cndmask_b32 v16, v16, v18 :: v_dual_add_nc_u32 v21, 1, v18
	s_delay_alu instid0(VALU_DEP_1) | instskip(NEXT) | instid1(VALU_DEP_1)
	v_cndmask_b32_e32 v14, v21, v14, vcc_lo
	v_cmp_ge_i32_e32 vcc_lo, v14, v16
	s_or_b32 s1, vcc_lo, s1
	s_delay_alu instid0(SALU_CYCLE_1)
	s_and_not1_b32 exec_lo, exec_lo, s1
	s_cbranch_execnz .LBB40_14
; %bb.15:
	s_or_b32 exec_lo, exec_lo, s1
.LBB40_16:
	s_delay_alu instid0(SALU_CYCLE_1) | instskip(SKIP_2) | instid1(VALU_DEP_2)
	s_or_b32 exec_lo, exec_lo, s0
	v_dual_add_nc_u32 v13, v12, v13 :: v_dual_add_nc_u32 v10, v14, v10
	v_lshl_add_u32 v15, v14, 1, v15
	v_sub_nc_u32_e32 v13, v13, v14
	s_delay_alu instid0(VALU_DEP_3) | instskip(NEXT) | instid1(VALU_DEP_2)
	v_cmp_le_i32_e32 vcc_lo, v12, v10
	v_lshl_add_u32 v16, v13, 1, v7
	v_cmp_gt_i32_e64 s1, v11, v13
	ds_load_u16 v15, v15
	ds_load_u16 v16, v16
	; wave barrier
	s_wait_dscnt 0x3
	ds_store_b32 v4, v5
	; wave barrier
	v_min_i32_e32 v11, 16, v6
	s_wait_dscnt 0x1
	v_cmp_lt_i16_e64 s0, v16, v15
	s_or_b32 s0, vcc_lo, s0
	s_delay_alu instid0(SALU_CYCLE_1) | instskip(SKIP_3) | instid1(VALU_DEP_2)
	s_and_b32 vcc_lo, s1, s0
	s_mov_b32 s0, exec_lo
	v_dual_cndmask_b32 v12, v15, v16, vcc_lo :: v_dual_cndmask_b32 v10, v10, v13, vcc_lo
	v_cmp_lt_i32_e32 vcc_lo, 15, v6
	v_lshl_add_u32 v10, v10, 2, v7
	ds_load_b32 v5, v10
	v_add_nc_u32_e32 v10, -16, v6
	; wave barrier
	ds_store_b16 v9, v12
	v_cndmask_b32_e32 v10, 0, v10, vcc_lo
	; wave barrier
	s_delay_alu instid0(VALU_DEP_1)
	v_cmpx_lt_i32_e64 v10, v11
	s_cbranch_execz .LBB40_20
; %bb.17:
	v_add3_u32 v12, v7, 32, v8
	s_mov_b32 s1, 0
.LBB40_18:                              ; =>This Inner Loop Header: Depth=1
	v_sub_nc_u32_e32 v13, v11, v10
	s_delay_alu instid0(VALU_DEP_1) | instskip(NEXT) | instid1(VALU_DEP_1)
	v_lshrrev_b32_e32 v13, 1, v13
	v_add_nc_u32_e32 v13, v13, v10
	s_delay_alu instid0(VALU_DEP_1) | instskip(SKIP_1) | instid1(VALU_DEP_2)
	v_not_b32_e32 v14, v13
	v_lshl_add_u32 v15, v13, 1, v7
	v_lshl_add_u32 v14, v14, 1, v12
	ds_load_u16 v15, v15
	ds_load_u16 v14, v14
	s_wait_dscnt 0x0
	v_cmp_lt_i16_e32 vcc_lo, v14, v15
	v_dual_cndmask_b32 v11, v11, v13 :: v_dual_add_nc_u32 v16, 1, v13
	s_delay_alu instid0(VALU_DEP_1) | instskip(NEXT) | instid1(VALU_DEP_1)
	v_cndmask_b32_e32 v10, v16, v10, vcc_lo
	v_cmp_ge_i32_e32 vcc_lo, v10, v11
	s_or_b32 s1, vcc_lo, s1
	s_delay_alu instid0(SALU_CYCLE_1)
	s_and_not1_b32 exec_lo, exec_lo, s1
	s_cbranch_execnz .LBB40_18
; %bb.19:
	s_or_b32 exec_lo, exec_lo, s1
.LBB40_20:
	s_delay_alu instid0(SALU_CYCLE_1) | instskip(SKIP_3) | instid1(VALU_DEP_3)
	s_or_b32 exec_lo, exec_lo, s0
	v_add_nc_u32_e32 v11, 16, v6
	v_lshl_add_u32 v12, v10, 1, v7
	v_cmp_le_i32_e32 vcc_lo, 16, v10
	v_sub_nc_u32_e32 v11, v11, v10
	s_delay_alu instid0(VALU_DEP_1)
	v_lshl_add_u32 v13, v11, 1, v7
	v_cmp_gt_i32_e64 s1, 32, v11
	ds_load_u16 v12, v12
	ds_load_u16 v13, v13
	; wave barrier
	s_wait_dscnt 0x3
	ds_store_b32 v4, v5
	; wave barrier
	s_wait_dscnt 0x1
	v_cmp_lt_i16_e64 s0, v13, v12
	s_or_b32 s0, vcc_lo, s0
	s_delay_alu instid0(SALU_CYCLE_1) | instskip(SKIP_3) | instid1(VALU_DEP_2)
	s_and_b32 vcc_lo, s1, s0
	s_mov_b32 s0, exec_lo
	v_dual_cndmask_b32 v10, v10, v11, vcc_lo :: v_dual_cndmask_b32 v12, v12, v13, vcc_lo
	v_cmp_lt_i32_e32 vcc_lo, 31, v6
	v_lshl_add_u32 v10, v10, 2, v7
	ds_load_b32 v5, v10
	v_or_b32_e32 v10, 0xffffffe0, v6
	; wave barrier
	ds_store_b16 v9, v12
	v_cndmask_b32_e32 v10, 0, v10, vcc_lo
	; wave barrier
	s_delay_alu instid0(VALU_DEP_1)
	v_cmpx_lt_i32_e64 v10, v6
	s_cbranch_execz .LBB40_24
; %bb.21:
	v_add3_u32 v8, v7, 64, v8
	v_mov_b32_e32 v9, v6
	s_mov_b32 s1, 0
.LBB40_22:                              ; =>This Inner Loop Header: Depth=1
	s_delay_alu instid0(VALU_DEP_1) | instskip(NEXT) | instid1(VALU_DEP_1)
	v_sub_nc_u32_e32 v11, v9, v10
	v_lshrrev_b32_e32 v11, 1, v11
	s_delay_alu instid0(VALU_DEP_1) | instskip(NEXT) | instid1(VALU_DEP_1)
	v_add_nc_u32_e32 v11, v11, v10
	v_not_b32_e32 v12, v11
	v_lshl_add_u32 v13, v11, 1, v7
	s_delay_alu instid0(VALU_DEP_2)
	v_lshl_add_u32 v12, v12, 1, v8
	ds_load_u16 v13, v13
	ds_load_u16 v12, v12
	s_wait_dscnt 0x0
	v_cmp_lt_i16_e32 vcc_lo, v12, v13
	v_dual_cndmask_b32 v9, v9, v11 :: v_dual_add_nc_u32 v14, 1, v11
	s_delay_alu instid0(VALU_DEP_1) | instskip(NEXT) | instid1(VALU_DEP_1)
	v_cndmask_b32_e32 v10, v14, v10, vcc_lo
	v_cmp_ge_i32_e32 vcc_lo, v10, v9
	s_or_b32 s1, vcc_lo, s1
	s_delay_alu instid0(SALU_CYCLE_1)
	s_and_not1_b32 exec_lo, exec_lo, s1
	s_cbranch_execnz .LBB40_22
; %bb.23:
	s_or_b32 exec_lo, exec_lo, s1
.LBB40_24:
	s_delay_alu instid0(SALU_CYCLE_1) | instskip(SKIP_3) | instid1(VALU_DEP_3)
	s_or_b32 exec_lo, exec_lo, s0
	v_add_nc_u32_e32 v6, 32, v6
	v_lshl_add_u32 v8, v10, 1, v7
	v_cmp_le_i32_e32 vcc_lo, 32, v10
	v_sub_nc_u32_e32 v6, v6, v10
	s_delay_alu instid0(VALU_DEP_1)
	v_lshl_add_u32 v9, v6, 1, v7
	v_cmp_gt_i32_e64 s1, 64, v6
	ds_load_u16 v8, v8
	ds_load_u16 v9, v9
	; wave barrier
	s_wait_dscnt 0x3
	ds_store_b32 v4, v5
	; wave barrier
	s_wait_dscnt 0x1
	v_cmp_lt_i16_e64 s0, v9, v8
	s_or_b32 s0, vcc_lo, s0
	s_delay_alu instid0(SALU_CYCLE_1) | instskip(NEXT) | instid1(SALU_CYCLE_1)
	s_and_b32 vcc_lo, s1, s0
	v_dual_cndmask_b32 v6, v10, v6, vcc_lo :: v_dual_cndmask_b32 v8, v8, v9, vcc_lo
	s_delay_alu instid0(VALU_DEP_1)
	v_lshl_add_u32 v6, v6, 2, v7
	ds_load_b32 v4, v6
	global_store_b16 v[0:1], v8, off
	s_wait_dscnt 0x0
	global_store_b32 v[2:3], v4, off
	s_endpgm
	.section	.rodata,"a",@progbits
	.p2align	6, 0x0
	.amdhsa_kernel _Z21sort_keys_values_fullILj512ELj64ELj1ELb0EsiN10test_utils4lessEEvPT3_PT4_T5_
		.amdhsa_group_segment_fixed_size 2080
		.amdhsa_private_segment_fixed_size 0
		.amdhsa_kernarg_size 20
		.amdhsa_user_sgpr_count 2
		.amdhsa_user_sgpr_dispatch_ptr 0
		.amdhsa_user_sgpr_queue_ptr 0
		.amdhsa_user_sgpr_kernarg_segment_ptr 1
		.amdhsa_user_sgpr_dispatch_id 0
		.amdhsa_user_sgpr_kernarg_preload_length 0
		.amdhsa_user_sgpr_kernarg_preload_offset 0
		.amdhsa_user_sgpr_private_segment_size 0
		.amdhsa_wavefront_size32 1
		.amdhsa_uses_dynamic_stack 0
		.amdhsa_enable_private_segment 0
		.amdhsa_system_sgpr_workgroup_id_x 1
		.amdhsa_system_sgpr_workgroup_id_y 0
		.amdhsa_system_sgpr_workgroup_id_z 0
		.amdhsa_system_sgpr_workgroup_info 0
		.amdhsa_system_vgpr_workitem_id 0
		.amdhsa_next_free_vgpr 22
		.amdhsa_next_free_sgpr 8
		.amdhsa_named_barrier_count 0
		.amdhsa_reserve_vcc 1
		.amdhsa_float_round_mode_32 0
		.amdhsa_float_round_mode_16_64 0
		.amdhsa_float_denorm_mode_32 3
		.amdhsa_float_denorm_mode_16_64 3
		.amdhsa_fp16_overflow 0
		.amdhsa_memory_ordered 1
		.amdhsa_forward_progress 1
		.amdhsa_inst_pref_size 18
		.amdhsa_round_robin_scheduling 0
		.amdhsa_exception_fp_ieee_invalid_op 0
		.amdhsa_exception_fp_denorm_src 0
		.amdhsa_exception_fp_ieee_div_zero 0
		.amdhsa_exception_fp_ieee_overflow 0
		.amdhsa_exception_fp_ieee_underflow 0
		.amdhsa_exception_fp_ieee_inexact 0
		.amdhsa_exception_int_div_zero 0
	.end_amdhsa_kernel
	.section	.text._Z21sort_keys_values_fullILj512ELj64ELj1ELb0EsiN10test_utils4lessEEvPT3_PT4_T5_,"axG",@progbits,_Z21sort_keys_values_fullILj512ELj64ELj1ELb0EsiN10test_utils4lessEEvPT3_PT4_T5_,comdat
.Lfunc_end40:
	.size	_Z21sort_keys_values_fullILj512ELj64ELj1ELb0EsiN10test_utils4lessEEvPT3_PT4_T5_, .Lfunc_end40-_Z21sort_keys_values_fullILj512ELj64ELj1ELb0EsiN10test_utils4lessEEvPT3_PT4_T5_
                                        ; -- End function
	.set _Z21sort_keys_values_fullILj512ELj64ELj1ELb0EsiN10test_utils4lessEEvPT3_PT4_T5_.num_vgpr, 22
	.set _Z21sort_keys_values_fullILj512ELj64ELj1ELb0EsiN10test_utils4lessEEvPT3_PT4_T5_.num_agpr, 0
	.set _Z21sort_keys_values_fullILj512ELj64ELj1ELb0EsiN10test_utils4lessEEvPT3_PT4_T5_.numbered_sgpr, 8
	.set _Z21sort_keys_values_fullILj512ELj64ELj1ELb0EsiN10test_utils4lessEEvPT3_PT4_T5_.num_named_barrier, 0
	.set _Z21sort_keys_values_fullILj512ELj64ELj1ELb0EsiN10test_utils4lessEEvPT3_PT4_T5_.private_seg_size, 0
	.set _Z21sort_keys_values_fullILj512ELj64ELj1ELb0EsiN10test_utils4lessEEvPT3_PT4_T5_.uses_vcc, 1
	.set _Z21sort_keys_values_fullILj512ELj64ELj1ELb0EsiN10test_utils4lessEEvPT3_PT4_T5_.uses_flat_scratch, 0
	.set _Z21sort_keys_values_fullILj512ELj64ELj1ELb0EsiN10test_utils4lessEEvPT3_PT4_T5_.has_dyn_sized_stack, 0
	.set _Z21sort_keys_values_fullILj512ELj64ELj1ELb0EsiN10test_utils4lessEEvPT3_PT4_T5_.has_recursion, 0
	.set _Z21sort_keys_values_fullILj512ELj64ELj1ELb0EsiN10test_utils4lessEEvPT3_PT4_T5_.has_indirect_call, 0
	.section	.AMDGPU.csdata,"",@progbits
; Kernel info:
; codeLenInByte = 2240
; TotalNumSgprs: 10
; NumVgprs: 22
; ScratchSize: 0
; MemoryBound: 0
; FloatMode: 240
; IeeeMode: 1
; LDSByteSize: 2080 bytes/workgroup (compile time only)
; SGPRBlocks: 0
; VGPRBlocks: 1
; NumSGPRsForWavesPerEU: 10
; NumVGPRsForWavesPerEU: 22
; NamedBarCnt: 0
; Occupancy: 16
; WaveLimiterHint : 0
; COMPUTE_PGM_RSRC2:SCRATCH_EN: 0
; COMPUTE_PGM_RSRC2:USER_SGPR: 2
; COMPUTE_PGM_RSRC2:TRAP_HANDLER: 0
; COMPUTE_PGM_RSRC2:TGID_X_EN: 1
; COMPUTE_PGM_RSRC2:TGID_Y_EN: 0
; COMPUTE_PGM_RSRC2:TGID_Z_EN: 0
; COMPUTE_PGM_RSRC2:TIDIG_COMP_CNT: 0
	.section	.text._Z21sort_keys_values_fullILj32ELj32ELj1ELb0EdiN10test_utils4lessEEvPT3_PT4_T5_,"axG",@progbits,_Z21sort_keys_values_fullILj32ELj32ELj1ELb0EdiN10test_utils4lessEEvPT3_PT4_T5_,comdat
	.protected	_Z21sort_keys_values_fullILj32ELj32ELj1ELb0EdiN10test_utils4lessEEvPT3_PT4_T5_ ; -- Begin function _Z21sort_keys_values_fullILj32ELj32ELj1ELb0EdiN10test_utils4lessEEvPT3_PT4_T5_
	.globl	_Z21sort_keys_values_fullILj32ELj32ELj1ELb0EdiN10test_utils4lessEEvPT3_PT4_T5_
	.p2align	8
	.type	_Z21sort_keys_values_fullILj32ELj32ELj1ELb0EdiN10test_utils4lessEEvPT3_PT4_T5_,@function
_Z21sort_keys_values_fullILj32ELj32ELj1ELb0EdiN10test_utils4lessEEvPT3_PT4_T5_: ; @_Z21sort_keys_values_fullILj32ELj32ELj1ELb0EdiN10test_utils4lessEEvPT3_PT4_T5_
; %bb.0:
	s_load_b128 s[4:7], s[0:1], 0x0
	s_wait_xcnt 0x0
	s_bfe_u32 s0, ttmp6, 0x4000c
	s_and_b32 s1, ttmp6, 15
	s_add_co_i32 s0, s0, 1
	s_getreg_b32 s2, hwreg(HW_REG_IB_STS2, 6, 4)
	s_mul_i32 s0, ttmp9, s0
	s_mov_b32 s3, 0
	s_add_co_i32 s1, s1, s0
	s_cmp_eq_u32 s2, 0
	v_mbcnt_lo_u32_b32 v6, -1, 0
	s_cselect_b32 s0, ttmp9, s1
	v_mov_b32_e32 v3, 0
	s_lshl_b32 s2, s0, 5
	v_lshlrev_b32_e32 v2, 3, v0
	s_lshl_b64 s[0:1], s[2:3], 3
	v_dual_lshlrev_b32 v4, 2, v0 :: v_dual_bitop2_b32 v9, 30, v6 bitop3:0x40
	v_dual_mov_b32 v5, v3 :: v_dual_mov_b32 v12, v3
	v_lshlrev_b32_e32 v7, 3, v6
	s_wait_kmcnt 0x0
	s_add_nc_u64 s[0:1], s[4:5], s[0:1]
	s_lshl_b64 s[4:5], s[2:3], 2
	global_load_b64 v[14:15], v0, s[0:1] scale_offset
	s_add_nc_u64 s[4:5], s[6:7], s[4:5]
	v_or_b32_e32 v10, 1, v9
	global_load_b32 v8, v0, s[4:5] scale_offset
	v_dual_lshlrev_b32 v13, 3, v9 :: v_dual_bitop2_b32 v11, 1, v6 bitop3:0x40
	s_mov_b32 s2, exec_lo
	v_sub_nc_u32_e32 v1, v10, v9
	; wave barrier
	s_wait_xcnt 0x0
	s_delay_alu instid0(VALU_DEP_1)
	v_min_i32_e32 v0, v11, v1
	s_wait_loadcnt 0x1
	ds_store_b64 v7, v[14:15]
	; wave barrier
	v_cmpx_lt_i32_e32 0, v0
	s_cbranch_execz .LBB41_4
; %bb.1:
	v_lshl_add_u32 v0, v11, 3, v13
	v_dual_mov_b32 v1, 1 :: v_dual_mov_b32 v12, v3
.LBB41_2:                               ; =>This Inner Loop Header: Depth=1
	s_delay_alu instid0(VALU_DEP_1) | instskip(NEXT) | instid1(VALU_DEP_1)
	v_sub_nc_u32_e32 v14, v1, v12
	v_lshrrev_b32_e32 v14, 1, v14
	s_delay_alu instid0(VALU_DEP_1) | instskip(NEXT) | instid1(VALU_DEP_1)
	v_add_nc_u32_e32 v18, v14, v12
	v_not_b32_e32 v14, v18
	v_lshl_add_u32 v15, v18, 3, v13
	s_delay_alu instid0(VALU_DEP_2)
	v_lshl_add_u32 v16, v14, 3, v0
	ds_load_b64 v[14:15], v15
	ds_load_b64 v[16:17], v16 offset:8
	s_wait_dscnt 0x0
	v_cmp_lt_f64_e32 vcc_lo, v[16:17], v[14:15]
	v_add_nc_u32_e32 v14, 1, v18
	s_delay_alu instid0(VALU_DEP_1) | instskip(NEXT) | instid1(VALU_DEP_1)
	v_dual_cndmask_b32 v12, v14, v12 :: v_dual_cndmask_b32 v1, v1, v18
	v_cmp_ge_i32_e32 vcc_lo, v12, v1
	s_or_b32 s3, vcc_lo, s3
	s_delay_alu instid0(SALU_CYCLE_1)
	s_and_not1_b32 exec_lo, exec_lo, s3
	s_cbranch_execnz .LBB41_2
; %bb.3:
	s_or_b32 exec_lo, exec_lo, s3
.LBB41_4:
	s_delay_alu instid0(SALU_CYCLE_1)
	s_or_b32 exec_lo, exec_lo, s2
	v_add_nc_u64_e32 v[0:1], s[0:1], v[2:3]
	v_add_nc_u64_e32 v[2:3], s[4:5], v[4:5]
	v_add_nc_u32_e32 v4, v9, v11
	v_lshl_add_u32 v5, v12, 3, v13
	v_cmp_lt_i32_e64 s0, 0, v12
	s_delay_alu instid0(VALU_DEP_3) | instskip(NEXT) | instid1(VALU_DEP_1)
	v_sub_nc_u32_e32 v4, v4, v12
	v_lshlrev_b32_e32 v4, 3, v4
	ds_load_b64 v[14:15], v5
	ds_load_b64 v[16:17], v4 offset:8
	v_dual_add_nc_u32 v5, v12, v9 :: v_dual_lshlrev_b32 v9, 2, v6
	v_add_nc_u32_e32 v4, v10, v11
	; wave barrier
	s_delay_alu instid0(VALU_DEP_1) | instskip(NEXT) | instid1(VALU_DEP_1)
	v_sub_nc_u32_e32 v4, v4, v12
	v_cmp_ge_i32_e64 s1, v10, v4
	s_delay_alu instid0(VALU_DEP_4)
	v_sub_nc_u32_e32 v10, v7, v9
	s_wait_loadcnt 0x0
	ds_store_b32 v10, v8
	s_wait_dscnt 0x1
	v_cmp_lt_f64_e32 vcc_lo, v[16:17], v[14:15]
	; wave barrier
	s_or_b32 s0, s0, vcc_lo
	s_delay_alu instid0(SALU_CYCLE_1) | instskip(SKIP_4) | instid1(VALU_DEP_2)
	s_and_b32 vcc_lo, s1, s0
	s_mov_b32 s0, 0
	v_dual_cndmask_b32 v5, v5, v4, vcc_lo :: v_dual_bitop2_b32 v4, 28, v6 bitop3:0x40
	v_dual_cndmask_b32 v15, v15, v17 :: v_dual_cndmask_b32 v14, v14, v16
	s_mov_b32 s1, exec_lo
	v_dual_lshlrev_b32 v5, 2, v5 :: v_dual_bitop2_b32 v10, 2, v4 bitop3:0x54
	v_and_b32_e32 v11, 3, v6
	ds_load_b32 v5, v5
	v_sub_nc_u32_e32 v12, v10, v4
	v_sub_nc_u32_e64 v8, v11, 2 clamp
	; wave barrier
	ds_store_b64 v7, v[14:15]
	v_min_i32_e32 v13, v11, v12
	v_lshlrev_b32_e32 v12, 3, v4
	; wave barrier
	s_delay_alu instid0(VALU_DEP_2)
	v_cmpx_lt_i32_e64 v8, v13
	s_cbranch_execz .LBB41_8
; %bb.5:
	s_delay_alu instid0(VALU_DEP_2)
	v_lshl_add_u32 v14, v11, 3, v12
.LBB41_6:                               ; =>This Inner Loop Header: Depth=1
	v_sub_nc_u32_e32 v15, v13, v8
	s_delay_alu instid0(VALU_DEP_1) | instskip(NEXT) | instid1(VALU_DEP_1)
	v_lshrrev_b32_e32 v15, 1, v15
	v_add_nc_u32_e32 v15, v15, v8
	s_delay_alu instid0(VALU_DEP_1) | instskip(SKIP_1) | instid1(VALU_DEP_2)
	v_not_b32_e32 v16, v15
	v_lshl_add_u32 v17, v15, 3, v12
	v_lshl_add_u32 v18, v16, 3, v14
	ds_load_b64 v[16:17], v17
	ds_load_b64 v[18:19], v18 offset:16
	s_wait_dscnt 0x0
	v_cmp_lt_f64_e32 vcc_lo, v[18:19], v[16:17]
	v_dual_cndmask_b32 v13, v13, v15 :: v_dual_add_nc_u32 v16, 1, v15
	s_delay_alu instid0(VALU_DEP_1) | instskip(NEXT) | instid1(VALU_DEP_1)
	v_cndmask_b32_e32 v8, v16, v8, vcc_lo
	v_cmp_ge_i32_e32 vcc_lo, v8, v13
	s_or_b32 s0, vcc_lo, s0
	s_delay_alu instid0(SALU_CYCLE_1)
	s_and_not1_b32 exec_lo, exec_lo, s0
	s_cbranch_execnz .LBB41_6
; %bb.7:
	s_or_b32 exec_lo, exec_lo, s0
.LBB41_8:
	s_delay_alu instid0(SALU_CYCLE_1) | instskip(SKIP_4) | instid1(VALU_DEP_4)
	s_or_b32 exec_lo, exec_lo, s1
	v_dual_sub_nc_u32 v9, 0, v9 :: v_dual_add_nc_u32 v13, v4, v11
	v_lshl_add_u32 v12, v8, 3, v12
	v_cmp_lt_i32_e64 s0, 1, v8
	v_dual_add_nc_u32 v10, v10, v11 :: v_dual_add_nc_u32 v11, 4, v4
	v_sub_nc_u32_e32 v13, v13, v8
	s_delay_alu instid0(VALU_DEP_1) | instskip(SKIP_3) | instid1(VALU_DEP_1)
	v_dual_add_nc_u32 v4, v8, v4 :: v_dual_lshlrev_b32 v14, 3, v13
	ds_load_b64 v[12:13], v12
	ds_load_b64 v[14:15], v14 offset:16
	v_dual_sub_nc_u32 v10, v10, v8 :: v_dual_bitop2_b32 v8, 24, v6 bitop3:0x40
	; wave barrier
	v_cmp_gt_i32_e64 s1, v11, v10
	s_wait_dscnt 0x0
	v_cmp_lt_f64_e32 vcc_lo, v[14:15], v[12:13]
	s_or_b32 s0, s0, vcc_lo
	s_delay_alu instid0(SALU_CYCLE_1) | instskip(SKIP_3) | instid1(VALU_DEP_2)
	s_and_b32 vcc_lo, s1, s0
	s_mov_b32 s0, exec_lo
	v_dual_cndmask_b32 v15, v13, v15 :: v_dual_cndmask_b32 v10, v4, v10
	v_dual_add_nc_u32 v4, v7, v9 :: v_dual_cndmask_b32 v14, v12, v14, vcc_lo
	v_dual_lshlrev_b32 v12, 3, v8 :: v_dual_lshlrev_b32 v9, 2, v10
	v_or_b32_e32 v10, 4, v8
	ds_store_b32 v4, v5
	; wave barrier
	ds_load_b32 v5, v9
	v_dual_sub_nc_u32 v13, v10, v8 :: v_dual_bitop2_b32 v11, 7, v6 bitop3:0x40
	; wave barrier
	ds_store_b64 v7, v[14:15]
	v_sub_nc_u32_e64 v9, v11, 4 clamp
	v_min_i32_e32 v13, v11, v13
	; wave barrier
	s_delay_alu instid0(VALU_DEP_1)
	v_cmpx_lt_i32_e64 v9, v13
	s_cbranch_execz .LBB41_12
; %bb.9:
	v_lshl_add_u32 v14, v11, 3, v12
	s_mov_b32 s1, 0
.LBB41_10:                              ; =>This Inner Loop Header: Depth=1
	v_sub_nc_u32_e32 v15, v13, v9
	s_delay_alu instid0(VALU_DEP_1) | instskip(NEXT) | instid1(VALU_DEP_1)
	v_lshrrev_b32_e32 v15, 1, v15
	v_add_nc_u32_e32 v15, v15, v9
	s_delay_alu instid0(VALU_DEP_1) | instskip(SKIP_1) | instid1(VALU_DEP_2)
	v_not_b32_e32 v16, v15
	v_lshl_add_u32 v17, v15, 3, v12
	v_lshl_add_u32 v18, v16, 3, v14
	ds_load_b64 v[16:17], v17
	ds_load_b64 v[18:19], v18 offset:32
	s_wait_dscnt 0x0
	v_cmp_lt_f64_e32 vcc_lo, v[18:19], v[16:17]
	v_dual_cndmask_b32 v13, v13, v15 :: v_dual_add_nc_u32 v16, 1, v15
	s_delay_alu instid0(VALU_DEP_1) | instskip(NEXT) | instid1(VALU_DEP_1)
	v_cndmask_b32_e32 v9, v16, v9, vcc_lo
	v_cmp_ge_i32_e32 vcc_lo, v9, v13
	s_or_b32 s1, vcc_lo, s1
	s_delay_alu instid0(SALU_CYCLE_1)
	s_and_not1_b32 exec_lo, exec_lo, s1
	s_cbranch_execnz .LBB41_10
; %bb.11:
	s_or_b32 exec_lo, exec_lo, s1
.LBB41_12:
	s_delay_alu instid0(SALU_CYCLE_1) | instskip(SKIP_3) | instid1(VALU_DEP_3)
	s_or_b32 exec_lo, exec_lo, s0
	v_dual_add_nc_u32 v13, v8, v11 :: v_dual_add_nc_u32 v10, v10, v11
	v_lshl_add_u32 v12, v9, 3, v12
	v_cmp_lt_i32_e64 s0, 3, v9
	v_dual_add_nc_u32 v11, 8, v8 :: v_dual_sub_nc_u32 v13, v13, v9
	s_delay_alu instid0(VALU_DEP_1)
	v_dual_add_nc_u32 v8, v9, v8 :: v_dual_lshlrev_b32 v14, 3, v13
	ds_load_b64 v[12:13], v12
	ds_load_b64 v[14:15], v14 offset:32
	v_sub_nc_u32_e32 v10, v10, v9
	; wave barrier
	s_wait_dscnt 0x3
	ds_store_b32 v4, v5
	v_cmp_gt_i32_e64 s1, v11, v10
	; wave barrier
	s_wait_dscnt 0x1
	v_cmp_lt_f64_e32 vcc_lo, v[14:15], v[12:13]
	s_or_b32 s0, s0, vcc_lo
	s_delay_alu instid0(SALU_CYCLE_1) | instskip(SKIP_3) | instid1(VALU_DEP_1)
	s_and_b32 vcc_lo, s1, s0
	s_mov_b32 s0, exec_lo
	v_dual_cndmask_b32 v15, v13, v15, vcc_lo :: v_dual_cndmask_b32 v9, v8, v10, vcc_lo
	v_and_b32_e32 v8, 16, v6
	v_dual_cndmask_b32 v14, v12, v14, vcc_lo :: v_dual_bitop2_b32 v10, 8, v8 bitop3:0x54
	s_delay_alu instid0(VALU_DEP_3) | instskip(NEXT) | instid1(VALU_DEP_2)
	v_dual_lshlrev_b32 v9, 2, v9 :: v_dual_bitop2_b32 v11, 15, v6 bitop3:0x40
	v_dual_lshlrev_b32 v12, 3, v8 :: v_dual_sub_nc_u32 v13, v10, v8
	ds_load_b32 v5, v9
	v_sub_nc_u32_e64 v9, v11, 8 clamp
	; wave barrier
	v_min_i32_e32 v13, v11, v13
	ds_store_b64 v7, v[14:15]
	; wave barrier
	v_cmpx_lt_i32_e64 v9, v13
	s_cbranch_execz .LBB41_16
; %bb.13:
	v_lshl_add_u32 v14, v11, 3, v12
	s_mov_b32 s1, 0
.LBB41_14:                              ; =>This Inner Loop Header: Depth=1
	v_sub_nc_u32_e32 v15, v13, v9
	s_delay_alu instid0(VALU_DEP_1) | instskip(NEXT) | instid1(VALU_DEP_1)
	v_lshrrev_b32_e32 v15, 1, v15
	v_add_nc_u32_e32 v15, v15, v9
	s_delay_alu instid0(VALU_DEP_1) | instskip(SKIP_1) | instid1(VALU_DEP_2)
	v_not_b32_e32 v16, v15
	v_lshl_add_u32 v17, v15, 3, v12
	v_lshl_add_u32 v18, v16, 3, v14
	ds_load_b64 v[16:17], v17
	ds_load_b64 v[18:19], v18 offset:64
	s_wait_dscnt 0x0
	v_cmp_lt_f64_e32 vcc_lo, v[18:19], v[16:17]
	v_dual_cndmask_b32 v13, v13, v15 :: v_dual_add_nc_u32 v16, 1, v15
	s_delay_alu instid0(VALU_DEP_1) | instskip(NEXT) | instid1(VALU_DEP_1)
	v_cndmask_b32_e32 v9, v16, v9, vcc_lo
	v_cmp_ge_i32_e32 vcc_lo, v9, v13
	s_or_b32 s1, vcc_lo, s1
	s_delay_alu instid0(SALU_CYCLE_1)
	s_and_not1_b32 exec_lo, exec_lo, s1
	s_cbranch_execnz .LBB41_14
; %bb.15:
	s_or_b32 exec_lo, exec_lo, s1
.LBB41_16:
	s_delay_alu instid0(SALU_CYCLE_1) | instskip(SKIP_3) | instid1(VALU_DEP_3)
	s_or_b32 exec_lo, exec_lo, s0
	v_dual_add_nc_u32 v13, v8, v11 :: v_dual_add_nc_u32 v10, v10, v11
	v_lshl_add_u32 v12, v9, 3, v12
	v_cmp_lt_i32_e64 s0, 7, v9
	v_dual_add_nc_u32 v11, 16, v8 :: v_dual_sub_nc_u32 v13, v13, v9
	s_delay_alu instid0(VALU_DEP_1)
	v_dual_add_nc_u32 v8, v9, v8 :: v_dual_lshlrev_b32 v14, 3, v13
	ds_load_b64 v[12:13], v12
	ds_load_b64 v[14:15], v14 offset:64
	v_sub_nc_u32_e32 v10, v10, v9
	; wave barrier
	s_wait_dscnt 0x3
	ds_store_b32 v4, v5
	v_cmp_gt_i32_e64 s1, v11, v10
	; wave barrier
	v_min_u32_e32 v9, 16, v6
	s_wait_dscnt 0x1
	v_cmp_lt_f64_e32 vcc_lo, v[14:15], v[12:13]
	s_or_b32 s0, s0, vcc_lo
	s_delay_alu instid0(SALU_CYCLE_1) | instskip(SKIP_2) | instid1(VALU_DEP_1)
	s_and_b32 vcc_lo, s1, s0
	s_mov_b32 s0, exec_lo
	v_dual_cndmask_b32 v11, v13, v15 :: v_dual_cndmask_b32 v8, v8, v10
	v_dual_cndmask_b32 v10, v12, v14, vcc_lo :: v_dual_lshlrev_b32 v8, 2, v8
	ds_load_b32 v5, v8
	v_sub_nc_u32_e64 v8, v6, 16 clamp
	; wave barrier
	ds_store_b64 v7, v[10:11]
	; wave barrier
	v_cmpx_lt_u32_e64 v8, v9
	s_cbranch_execz .LBB41_20
; %bb.17:
	s_mov_b32 s1, 0
.LBB41_18:                              ; =>This Inner Loop Header: Depth=1
	v_sub_nc_u32_e32 v10, v9, v8
	s_delay_alu instid0(VALU_DEP_1) | instskip(NEXT) | instid1(VALU_DEP_1)
	v_lshrrev_b32_e32 v10, 1, v10
	v_add_nc_u32_e32 v14, v10, v8
	s_delay_alu instid0(VALU_DEP_1) | instskip(SKIP_1) | instid1(VALU_DEP_2)
	v_not_b32_e32 v10, v14
	v_lshlrev_b32_e32 v11, 3, v14
	v_lshl_add_u32 v12, v10, 3, v7
	ds_load_b64 v[10:11], v11
	ds_load_b64 v[12:13], v12 offset:128
	s_wait_dscnt 0x0
	v_cmp_lt_f64_e32 vcc_lo, v[12:13], v[10:11]
	v_add_nc_u32_e32 v10, 1, v14
	s_delay_alu instid0(VALU_DEP_1) | instskip(NEXT) | instid1(VALU_DEP_1)
	v_dual_cndmask_b32 v8, v10, v8 :: v_dual_cndmask_b32 v9, v9, v14
	v_cmp_ge_i32_e32 vcc_lo, v8, v9
	s_or_b32 s1, vcc_lo, s1
	s_delay_alu instid0(SALU_CYCLE_1)
	s_and_not1_b32 exec_lo, exec_lo, s1
	s_cbranch_execnz .LBB41_18
; %bb.19:
	s_or_b32 exec_lo, exec_lo, s1
.LBB41_20:
	s_delay_alu instid0(SALU_CYCLE_1) | instskip(SKIP_2) | instid1(VALU_DEP_2)
	s_or_b32 exec_lo, exec_lo, s0
	v_dual_sub_nc_u32 v9, v6, v8 :: v_dual_lshlrev_b32 v6, 3, v8
	v_cmp_lt_i32_e64 s0, 15, v8
	v_dual_lshlrev_b32 v10, 3, v9 :: v_dual_add_nc_u32 v9, 16, v9
	ds_load_b64 v[6:7], v6
	ds_load_b64 v[10:11], v10 offset:128
	v_cmp_gt_i32_e64 s1, 32, v9
	; wave barrier
	s_wait_dscnt 0x3
	ds_store_b32 v4, v5
	; wave barrier
	s_wait_dscnt 0x1
	v_cmp_lt_f64_e32 vcc_lo, v[10:11], v[6:7]
	s_or_b32 s0, s0, vcc_lo
	s_delay_alu instid0(SALU_CYCLE_1) | instskip(SKIP_1) | instid1(VALU_DEP_1)
	s_and_b32 vcc_lo, s1, s0
	v_dual_cndmask_b32 v7, v7, v11 :: v_dual_cndmask_b32 v8, v8, v9
	v_dual_cndmask_b32 v6, v6, v10, vcc_lo :: v_dual_lshlrev_b32 v8, 2, v8
	ds_load_b32 v4, v8
	global_store_b64 v[0:1], v[6:7], off
	s_wait_dscnt 0x0
	global_store_b32 v[2:3], v4, off
	s_endpgm
	.section	.rodata,"a",@progbits
	.p2align	6, 0x0
	.amdhsa_kernel _Z21sort_keys_values_fullILj32ELj32ELj1ELb0EdiN10test_utils4lessEEvPT3_PT4_T5_
		.amdhsa_group_segment_fixed_size 264
		.amdhsa_private_segment_fixed_size 0
		.amdhsa_kernarg_size 20
		.amdhsa_user_sgpr_count 2
		.amdhsa_user_sgpr_dispatch_ptr 0
		.amdhsa_user_sgpr_queue_ptr 0
		.amdhsa_user_sgpr_kernarg_segment_ptr 1
		.amdhsa_user_sgpr_dispatch_id 0
		.amdhsa_user_sgpr_kernarg_preload_length 0
		.amdhsa_user_sgpr_kernarg_preload_offset 0
		.amdhsa_user_sgpr_private_segment_size 0
		.amdhsa_wavefront_size32 1
		.amdhsa_uses_dynamic_stack 0
		.amdhsa_enable_private_segment 0
		.amdhsa_system_sgpr_workgroup_id_x 1
		.amdhsa_system_sgpr_workgroup_id_y 0
		.amdhsa_system_sgpr_workgroup_id_z 0
		.amdhsa_system_sgpr_workgroup_info 0
		.amdhsa_system_vgpr_workitem_id 0
		.amdhsa_next_free_vgpr 20
		.amdhsa_next_free_sgpr 8
		.amdhsa_named_barrier_count 0
		.amdhsa_reserve_vcc 1
		.amdhsa_float_round_mode_32 0
		.amdhsa_float_round_mode_16_64 0
		.amdhsa_float_denorm_mode_32 3
		.amdhsa_float_denorm_mode_16_64 3
		.amdhsa_fp16_overflow 0
		.amdhsa_memory_ordered 1
		.amdhsa_forward_progress 1
		.amdhsa_inst_pref_size 15
		.amdhsa_round_robin_scheduling 0
		.amdhsa_exception_fp_ieee_invalid_op 0
		.amdhsa_exception_fp_denorm_src 0
		.amdhsa_exception_fp_ieee_div_zero 0
		.amdhsa_exception_fp_ieee_overflow 0
		.amdhsa_exception_fp_ieee_underflow 0
		.amdhsa_exception_fp_ieee_inexact 0
		.amdhsa_exception_int_div_zero 0
	.end_amdhsa_kernel
	.section	.text._Z21sort_keys_values_fullILj32ELj32ELj1ELb0EdiN10test_utils4lessEEvPT3_PT4_T5_,"axG",@progbits,_Z21sort_keys_values_fullILj32ELj32ELj1ELb0EdiN10test_utils4lessEEvPT3_PT4_T5_,comdat
.Lfunc_end41:
	.size	_Z21sort_keys_values_fullILj32ELj32ELj1ELb0EdiN10test_utils4lessEEvPT3_PT4_T5_, .Lfunc_end41-_Z21sort_keys_values_fullILj32ELj32ELj1ELb0EdiN10test_utils4lessEEvPT3_PT4_T5_
                                        ; -- End function
	.set _Z21sort_keys_values_fullILj32ELj32ELj1ELb0EdiN10test_utils4lessEEvPT3_PT4_T5_.num_vgpr, 20
	.set _Z21sort_keys_values_fullILj32ELj32ELj1ELb0EdiN10test_utils4lessEEvPT3_PT4_T5_.num_agpr, 0
	.set _Z21sort_keys_values_fullILj32ELj32ELj1ELb0EdiN10test_utils4lessEEvPT3_PT4_T5_.numbered_sgpr, 8
	.set _Z21sort_keys_values_fullILj32ELj32ELj1ELb0EdiN10test_utils4lessEEvPT3_PT4_T5_.num_named_barrier, 0
	.set _Z21sort_keys_values_fullILj32ELj32ELj1ELb0EdiN10test_utils4lessEEvPT3_PT4_T5_.private_seg_size, 0
	.set _Z21sort_keys_values_fullILj32ELj32ELj1ELb0EdiN10test_utils4lessEEvPT3_PT4_T5_.uses_vcc, 1
	.set _Z21sort_keys_values_fullILj32ELj32ELj1ELb0EdiN10test_utils4lessEEvPT3_PT4_T5_.uses_flat_scratch, 0
	.set _Z21sort_keys_values_fullILj32ELj32ELj1ELb0EdiN10test_utils4lessEEvPT3_PT4_T5_.has_dyn_sized_stack, 0
	.set _Z21sort_keys_values_fullILj32ELj32ELj1ELb0EdiN10test_utils4lessEEvPT3_PT4_T5_.has_recursion, 0
	.set _Z21sort_keys_values_fullILj32ELj32ELj1ELb0EdiN10test_utils4lessEEvPT3_PT4_T5_.has_indirect_call, 0
	.section	.AMDGPU.csdata,"",@progbits
; Kernel info:
; codeLenInByte = 1800
; TotalNumSgprs: 10
; NumVgprs: 20
; ScratchSize: 0
; MemoryBound: 0
; FloatMode: 240
; IeeeMode: 1
; LDSByteSize: 264 bytes/workgroup (compile time only)
; SGPRBlocks: 0
; VGPRBlocks: 1
; NumSGPRsForWavesPerEU: 10
; NumVGPRsForWavesPerEU: 20
; NamedBarCnt: 0
; Occupancy: 16
; WaveLimiterHint : 0
; COMPUTE_PGM_RSRC2:SCRATCH_EN: 0
; COMPUTE_PGM_RSRC2:USER_SGPR: 2
; COMPUTE_PGM_RSRC2:TRAP_HANDLER: 0
; COMPUTE_PGM_RSRC2:TGID_X_EN: 1
; COMPUTE_PGM_RSRC2:TGID_Y_EN: 0
; COMPUTE_PGM_RSRC2:TGID_Z_EN: 0
; COMPUTE_PGM_RSRC2:TIDIG_COMP_CNT: 0
	.section	.text._Z21sort_keys_values_fullILj64ELj16ELj1ELb0EfcN10test_utils4lessEEvPT3_PT4_T5_,"axG",@progbits,_Z21sort_keys_values_fullILj64ELj16ELj1ELb0EfcN10test_utils4lessEEvPT3_PT4_T5_,comdat
	.protected	_Z21sort_keys_values_fullILj64ELj16ELj1ELb0EfcN10test_utils4lessEEvPT3_PT4_T5_ ; -- Begin function _Z21sort_keys_values_fullILj64ELj16ELj1ELb0EfcN10test_utils4lessEEvPT3_PT4_T5_
	.globl	_Z21sort_keys_values_fullILj64ELj16ELj1ELb0EfcN10test_utils4lessEEvPT3_PT4_T5_
	.p2align	8
	.type	_Z21sort_keys_values_fullILj64ELj16ELj1ELb0EfcN10test_utils4lessEEvPT3_PT4_T5_,@function
_Z21sort_keys_values_fullILj64ELj16ELj1ELb0EfcN10test_utils4lessEEvPT3_PT4_T5_: ; @_Z21sort_keys_values_fullILj64ELj16ELj1ELb0EfcN10test_utils4lessEEvPT3_PT4_T5_
; %bb.0:
	s_load_b128 s[4:7], s[0:1], 0x0
	s_wait_xcnt 0x0
	s_bfe_u32 s0, ttmp6, 0x4000c
	s_and_b32 s1, ttmp6, 15
	s_add_co_i32 s0, s0, 1
	s_getreg_b32 s2, hwreg(HW_REG_IB_STS2, 6, 4)
	s_mul_i32 s0, ttmp9, s0
	s_mov_b32 s3, 0
	s_add_co_i32 s1, s1, s0
	s_cmp_eq_u32 s2, 0
	v_mbcnt_lo_u32_b32 v8, -1, 0
	s_cselect_b32 s0, ttmp9, s1
	v_mov_b32_e32 v1, 0
	s_lshl_b32 s2, s0, 6
	v_lshlrev_b32_e32 v2, 2, v0
	s_lshl_b64 s[0:1], s[2:3], 2
	v_and_b32_e32 v7, 14, v8
	v_and_b32_e32 v11, 1, v8
	v_dual_lshrrev_b32 v5, 4, v0 :: v_dual_mov_b32 v3, v1
	v_mov_b32_e32 v12, v1
	s_wait_kmcnt 0x0
	s_add_nc_u64 s[0:1], s[4:5], s[0:1]
	s_add_nc_u64 s[4:5], s[6:7], s[2:3]
	s_clause 0x1
	global_load_b32 v14, v0, s[0:1] scale_offset
	global_load_u8 v9, v0, s[4:5]
	v_or_b32_e32 v10, 1, v7
	v_dual_lshlrev_b32 v15, 2, v7 :: v_dual_bitop2_b32 v4, 15, v8 bitop3:0x40
	s_mov_b32 s2, exec_lo
	s_delay_alu instid0(VALU_DEP_1) | instskip(NEXT) | instid1(VALU_DEP_1)
	v_dual_sub_nc_u32 v6, v10, v7 :: v_dual_lshlrev_b32 v13, 2, v4
	; wave barrier
	v_min_i32_e32 v16, v11, v6
	s_delay_alu instid0(VALU_DEP_2)
	v_mad_u32_u24 v6, 0x44, v5, v13
	v_mad_u32_u24 v13, 0x44, v5, v15
	s_wait_loadcnt 0x1
	ds_store_b32 v6, v14
	; wave barrier
	s_wait_xcnt 0x0
	v_cmpx_lt_i32_e32 0, v16
	s_cbranch_execz .LBB42_4
; %bb.1:
	v_lshl_add_u32 v14, v11, 2, v13
	v_dual_mov_b32 v15, 1 :: v_dual_mov_b32 v12, v1
.LBB42_2:                               ; =>This Inner Loop Header: Depth=1
	s_delay_alu instid0(VALU_DEP_1) | instskip(NEXT) | instid1(VALU_DEP_1)
	v_sub_nc_u32_e32 v16, v15, v12
	v_lshrrev_b32_e32 v16, 1, v16
	s_delay_alu instid0(VALU_DEP_1) | instskip(NEXT) | instid1(VALU_DEP_1)
	v_add_nc_u32_e32 v16, v16, v12
	v_not_b32_e32 v17, v16
	v_lshl_add_u32 v18, v16, 2, v13
	s_delay_alu instid0(VALU_DEP_2)
	v_lshl_add_u32 v17, v17, 2, v14
	ds_load_b32 v18, v18
	ds_load_b32 v17, v17 offset:4
	s_wait_dscnt 0x0
	v_cmp_lt_f32_e32 vcc_lo, v17, v18
	v_add_nc_u32_e32 v19, 1, v16
	s_delay_alu instid0(VALU_DEP_1) | instskip(SKIP_1) | instid1(VALU_DEP_1)
	v_cndmask_b32_e32 v12, v19, v12, vcc_lo
	v_cndmask_b32_e32 v15, v15, v16, vcc_lo
	v_cmp_ge_i32_e32 vcc_lo, v12, v15
	s_or_b32 s3, vcc_lo, s3
	s_delay_alu instid0(SALU_CYCLE_1)
	s_and_not1_b32 exec_lo, exec_lo, s3
	s_cbranch_execnz .LBB42_2
; %bb.3:
	s_or_b32 exec_lo, exec_lo, s3
.LBB42_4:
	s_delay_alu instid0(SALU_CYCLE_1) | instskip(SKIP_4) | instid1(VALU_DEP_4)
	s_or_b32 exec_lo, exec_lo, s2
	v_dual_add_nc_u32 v14, v7, v11 :: v_dual_add_nc_u32 v11, v10, v11
	v_mul_u32_u24_e32 v5, 0x44, v5
	v_lshl_add_u32 v13, v12, 2, v13
	v_add_nc_u64_e32 v[2:3], s[0:1], v[2:3]
	v_dual_sub_nc_u32 v14, v14, v12 :: v_dual_sub_nc_u32 v11, v11, v12
	v_cmp_lt_i32_e32 vcc_lo, 0, v12
	v_add_nc_u64_e32 v[0:1], s[4:5], v[0:1]
	s_delay_alu instid0(VALU_DEP_3) | instskip(NEXT) | instid1(VALU_DEP_4)
	v_lshl_add_u32 v14, v14, 2, v5
	v_cmp_ge_i32_e64 s1, v10, v11
	ds_load_b32 v13, v13
	ds_load_b32 v14, v14 offset:4
	; wave barrier
	s_wait_dscnt 0x0
	v_cmp_lt_f32_e64 s0, v14, v13
	s_or_b32 s0, vcc_lo, s0
	s_delay_alu instid0(SALU_CYCLE_1) | instskip(SKIP_3) | instid1(VALU_DEP_1)
	s_and_b32 vcc_lo, s1, s0
	v_dual_cndmask_b32 v16, v13, v14 :: v_dual_add_nc_u32 v7, v12, v7
	s_mov_b32 s0, 0
	s_mov_b32 s1, exec_lo
	v_dual_cndmask_b32 v11, v7, v11, vcc_lo :: v_dual_add_nc_u32 v7, v5, v4
	s_delay_alu instid0(VALU_DEP_1)
	v_dual_add_nc_u32 v11, v5, v11 :: v_dual_bitop2_b32 v10, 12, v8 bitop3:0x40
	s_wait_loadcnt 0x0
	ds_store_b8 v7, v9
	; wave barrier
	v_or_b32_e32 v12, 2, v10
	ds_load_u8 v9, v11
	v_and_b32_e32 v13, 3, v8
	; wave barrier
	v_sub_nc_u32_e32 v14, v12, v10
	ds_store_b32 v6, v16
	v_sub_nc_u32_e64 v11, v13, 2 clamp
	; wave barrier
	v_min_i32_e32 v15, v13, v14
	v_lshl_add_u32 v14, v10, 2, v5
	s_delay_alu instid0(VALU_DEP_2)
	v_cmpx_lt_i32_e64 v11, v15
	s_cbranch_execz .LBB42_8
; %bb.5:
	s_delay_alu instid0(VALU_DEP_2)
	v_lshl_add_u32 v16, v13, 2, v14
.LBB42_6:                               ; =>This Inner Loop Header: Depth=1
	v_sub_nc_u32_e32 v17, v15, v11
	s_delay_alu instid0(VALU_DEP_1) | instskip(NEXT) | instid1(VALU_DEP_1)
	v_lshrrev_b32_e32 v17, 1, v17
	v_add_nc_u32_e32 v17, v17, v11
	s_delay_alu instid0(VALU_DEP_1) | instskip(SKIP_1) | instid1(VALU_DEP_2)
	v_not_b32_e32 v18, v17
	v_lshl_add_u32 v19, v17, 2, v14
	v_lshl_add_u32 v18, v18, 2, v16
	ds_load_b32 v19, v19
	ds_load_b32 v18, v18 offset:8
	s_wait_dscnt 0x0
	v_cmp_lt_f32_e32 vcc_lo, v18, v19
	v_dual_cndmask_b32 v15, v15, v17 :: v_dual_add_nc_u32 v20, 1, v17
	s_delay_alu instid0(VALU_DEP_1) | instskip(NEXT) | instid1(VALU_DEP_1)
	v_cndmask_b32_e32 v11, v20, v11, vcc_lo
	v_cmp_ge_i32_e32 vcc_lo, v11, v15
	s_or_b32 s0, vcc_lo, s0
	s_delay_alu instid0(SALU_CYCLE_1)
	s_and_not1_b32 exec_lo, exec_lo, s0
	s_cbranch_execnz .LBB42_6
; %bb.7:
	s_or_b32 exec_lo, exec_lo, s0
.LBB42_8:
	s_delay_alu instid0(SALU_CYCLE_1) | instskip(SKIP_3) | instid1(VALU_DEP_3)
	s_or_b32 exec_lo, exec_lo, s1
	v_dual_add_nc_u32 v15, v10, v13 :: v_dual_add_nc_u32 v12, v12, v13
	v_lshl_add_u32 v14, v11, 2, v14
	v_cmp_lt_i32_e32 vcc_lo, 1, v11
	v_dual_add_nc_u32 v13, 4, v10 :: v_dual_sub_nc_u32 v15, v15, v11
	s_delay_alu instid0(VALU_DEP_4) | instskip(NEXT) | instid1(VALU_DEP_2)
	v_dual_sub_nc_u32 v12, v12, v11 :: v_dual_add_nc_u32 v10, v11, v10
	v_lshl_add_u32 v15, v15, 2, v5
	s_delay_alu instid0(VALU_DEP_2)
	v_cmp_gt_i32_e64 s1, v13, v12
	ds_load_b32 v14, v14
	ds_load_b32 v15, v15 offset:8
	; wave barrier
	s_wait_dscnt 0x3
	ds_store_b8 v7, v9
	; wave barrier
	s_wait_dscnt 0x1
	v_cmp_lt_f32_e64 s0, v15, v14
	s_or_b32 s0, vcc_lo, s0
	s_delay_alu instid0(SALU_CYCLE_1) | instskip(SKIP_3) | instid1(VALU_DEP_2)
	s_and_b32 vcc_lo, s1, s0
	s_mov_b32 s0, exec_lo
	v_cndmask_b32_e32 v11, v10, v12, vcc_lo
	v_dual_cndmask_b32 v15, v14, v15, vcc_lo :: v_dual_bitop2_b32 v10, 8, v8 bitop3:0x40
	v_dual_add_nc_u32 v11, v5, v11 :: v_dual_bitop2_b32 v12, 7, v8 bitop3:0x40
	s_delay_alu instid0(VALU_DEP_1) | instskip(SKIP_4) | instid1(VALU_DEP_1)
	v_sub_nc_u32_e64 v8, v12, 4 clamp
	ds_load_u8 v9, v11
	v_or_b32_e32 v11, 4, v10
	; wave barrier
	ds_store_b32 v6, v15
	v_sub_nc_u32_e32 v13, v11, v10
	; wave barrier
	v_min_i32_e32 v14, v12, v13
	v_lshl_add_u32 v13, v10, 2, v5
	s_delay_alu instid0(VALU_DEP_2)
	v_cmpx_lt_i32_e64 v8, v14
	s_cbranch_execz .LBB42_12
; %bb.9:
	s_delay_alu instid0(VALU_DEP_2)
	v_lshl_add_u32 v15, v12, 2, v13
	s_mov_b32 s1, 0
.LBB42_10:                              ; =>This Inner Loop Header: Depth=1
	v_sub_nc_u32_e32 v16, v14, v8
	s_delay_alu instid0(VALU_DEP_1) | instskip(NEXT) | instid1(VALU_DEP_1)
	v_lshrrev_b32_e32 v16, 1, v16
	v_add_nc_u32_e32 v16, v16, v8
	s_delay_alu instid0(VALU_DEP_1) | instskip(SKIP_1) | instid1(VALU_DEP_2)
	v_not_b32_e32 v17, v16
	v_lshl_add_u32 v18, v16, 2, v13
	v_lshl_add_u32 v17, v17, 2, v15
	ds_load_b32 v18, v18
	ds_load_b32 v17, v17 offset:16
	s_wait_dscnt 0x0
	v_cmp_lt_f32_e32 vcc_lo, v17, v18
	v_dual_cndmask_b32 v14, v14, v16 :: v_dual_add_nc_u32 v19, 1, v16
	s_delay_alu instid0(VALU_DEP_1) | instskip(NEXT) | instid1(VALU_DEP_1)
	v_cndmask_b32_e32 v8, v19, v8, vcc_lo
	v_cmp_ge_i32_e32 vcc_lo, v8, v14
	s_or_b32 s1, vcc_lo, s1
	s_delay_alu instid0(SALU_CYCLE_1)
	s_and_not1_b32 exec_lo, exec_lo, s1
	s_cbranch_execnz .LBB42_10
; %bb.11:
	s_or_b32 exec_lo, exec_lo, s1
.LBB42_12:
	s_delay_alu instid0(SALU_CYCLE_1) | instskip(SKIP_3) | instid1(VALU_DEP_3)
	s_or_b32 exec_lo, exec_lo, s0
	v_dual_add_nc_u32 v14, v10, v12 :: v_dual_add_nc_u32 v11, v11, v12
	v_lshl_add_u32 v13, v8, 2, v13
	v_cmp_lt_i32_e32 vcc_lo, 3, v8
	v_dual_add_nc_u32 v12, 8, v10 :: v_dual_sub_nc_u32 v14, v14, v8
	s_delay_alu instid0(VALU_DEP_4) | instskip(SKIP_1) | instid1(VALU_DEP_3)
	v_dual_sub_nc_u32 v11, v11, v8 :: v_dual_add_nc_u32 v8, v8, v10
	v_min_u32_e32 v10, 8, v4
	v_lshl_add_u32 v14, v14, 2, v5
	s_delay_alu instid0(VALU_DEP_3)
	v_cmp_gt_i32_e64 s1, v12, v11
	ds_load_b32 v13, v13
	ds_load_b32 v14, v14 offset:16
	; wave barrier
	s_wait_dscnt 0x3
	ds_store_b8 v7, v9
	; wave barrier
	v_sub_nc_u32_e64 v9, v4, 8 clamp
	s_wait_dscnt 0x1
	v_cmp_lt_f32_e64 s0, v14, v13
	s_or_b32 s0, vcc_lo, s0
	s_delay_alu instid0(SALU_CYCLE_1) | instskip(SKIP_2) | instid1(VALU_DEP_1)
	s_and_b32 vcc_lo, s1, s0
	s_mov_b32 s0, exec_lo
	v_dual_cndmask_b32 v12, v13, v14, vcc_lo :: v_dual_cndmask_b32 v8, v8, v11, vcc_lo
	v_add_nc_u32_e32 v8, v5, v8
	ds_load_u8 v8, v8
	; wave barrier
	ds_store_b32 v6, v12
	; wave barrier
	v_cmpx_lt_u32_e64 v9, v10
	s_cbranch_execz .LBB42_16
; %bb.13:
	v_mad_u32_u24 v6, v4, 3, v7
	s_mov_b32 s1, 0
.LBB42_14:                              ; =>This Inner Loop Header: Depth=1
	v_sub_nc_u32_e32 v11, v10, v9
	s_delay_alu instid0(VALU_DEP_1) | instskip(NEXT) | instid1(VALU_DEP_1)
	v_lshrrev_b32_e32 v11, 1, v11
	v_add_nc_u32_e32 v11, v11, v9
	s_delay_alu instid0(VALU_DEP_1) | instskip(SKIP_1) | instid1(VALU_DEP_2)
	v_not_b32_e32 v12, v11
	v_lshl_add_u32 v13, v11, 2, v5
	v_lshl_add_u32 v12, v12, 2, v6
	ds_load_b32 v13, v13
	ds_load_b32 v12, v12 offset:32
	s_wait_dscnt 0x0
	v_cmp_lt_f32_e32 vcc_lo, v12, v13
	v_dual_add_nc_u32 v14, 1, v11 :: v_dual_cndmask_b32 v10, v10, v11, vcc_lo
	s_delay_alu instid0(VALU_DEP_1) | instskip(NEXT) | instid1(VALU_DEP_1)
	v_cndmask_b32_e32 v9, v14, v9, vcc_lo
	v_cmp_ge_i32_e32 vcc_lo, v9, v10
	s_or_b32 s1, vcc_lo, s1
	s_delay_alu instid0(SALU_CYCLE_1)
	s_and_not1_b32 exec_lo, exec_lo, s1
	s_cbranch_execnz .LBB42_14
; %bb.15:
	s_or_b32 exec_lo, exec_lo, s1
.LBB42_16:
	s_delay_alu instid0(SALU_CYCLE_1) | instskip(SKIP_3) | instid1(VALU_DEP_3)
	s_or_b32 exec_lo, exec_lo, s0
	v_sub_nc_u32_e32 v4, v4, v9
	v_lshl_add_u32 v6, v9, 2, v5
	v_cmp_lt_i32_e32 vcc_lo, 7, v9
	v_lshl_add_u32 v10, v4, 2, v5
	v_add_nc_u32_e32 v4, 8, v4
	ds_load_b32 v6, v6
	ds_load_b32 v10, v10 offset:32
	v_cmp_gt_i32_e64 s1, 16, v4
	; wave barrier
	s_wait_dscnt 0x3
	ds_store_b8 v7, v8
	; wave barrier
	s_wait_dscnt 0x1
	v_cmp_lt_f32_e64 s0, v10, v6
	s_or_b32 s0, vcc_lo, s0
	s_delay_alu instid0(SALU_CYCLE_1) | instskip(NEXT) | instid1(SALU_CYCLE_1)
	s_and_b32 vcc_lo, s1, s0
	v_dual_cndmask_b32 v4, v9, v4, vcc_lo :: v_dual_cndmask_b32 v6, v6, v10, vcc_lo
	s_delay_alu instid0(VALU_DEP_1)
	v_add_nc_u32_e32 v4, v5, v4
	ds_load_u8 v4, v4
	global_store_b32 v[2:3], v6, off
	s_wait_dscnt 0x0
	global_store_b8 v[0:1], v4, off
	s_endpgm
	.section	.rodata,"a",@progbits
	.p2align	6, 0x0
	.amdhsa_kernel _Z21sort_keys_values_fullILj64ELj16ELj1ELb0EfcN10test_utils4lessEEvPT3_PT4_T5_
		.amdhsa_group_segment_fixed_size 272
		.amdhsa_private_segment_fixed_size 0
		.amdhsa_kernarg_size 20
		.amdhsa_user_sgpr_count 2
		.amdhsa_user_sgpr_dispatch_ptr 0
		.amdhsa_user_sgpr_queue_ptr 0
		.amdhsa_user_sgpr_kernarg_segment_ptr 1
		.amdhsa_user_sgpr_dispatch_id 0
		.amdhsa_user_sgpr_kernarg_preload_length 0
		.amdhsa_user_sgpr_kernarg_preload_offset 0
		.amdhsa_user_sgpr_private_segment_size 0
		.amdhsa_wavefront_size32 1
		.amdhsa_uses_dynamic_stack 0
		.amdhsa_enable_private_segment 0
		.amdhsa_system_sgpr_workgroup_id_x 1
		.amdhsa_system_sgpr_workgroup_id_y 0
		.amdhsa_system_sgpr_workgroup_id_z 0
		.amdhsa_system_sgpr_workgroup_info 0
		.amdhsa_system_vgpr_workitem_id 0
		.amdhsa_next_free_vgpr 21
		.amdhsa_next_free_sgpr 8
		.amdhsa_named_barrier_count 0
		.amdhsa_reserve_vcc 1
		.amdhsa_float_round_mode_32 0
		.amdhsa_float_round_mode_16_64 0
		.amdhsa_float_denorm_mode_32 3
		.amdhsa_float_denorm_mode_16_64 3
		.amdhsa_fp16_overflow 0
		.amdhsa_memory_ordered 1
		.amdhsa_forward_progress 1
		.amdhsa_inst_pref_size 12
		.amdhsa_round_robin_scheduling 0
		.amdhsa_exception_fp_ieee_invalid_op 0
		.amdhsa_exception_fp_denorm_src 0
		.amdhsa_exception_fp_ieee_div_zero 0
		.amdhsa_exception_fp_ieee_overflow 0
		.amdhsa_exception_fp_ieee_underflow 0
		.amdhsa_exception_fp_ieee_inexact 0
		.amdhsa_exception_int_div_zero 0
	.end_amdhsa_kernel
	.section	.text._Z21sort_keys_values_fullILj64ELj16ELj1ELb0EfcN10test_utils4lessEEvPT3_PT4_T5_,"axG",@progbits,_Z21sort_keys_values_fullILj64ELj16ELj1ELb0EfcN10test_utils4lessEEvPT3_PT4_T5_,comdat
.Lfunc_end42:
	.size	_Z21sort_keys_values_fullILj64ELj16ELj1ELb0EfcN10test_utils4lessEEvPT3_PT4_T5_, .Lfunc_end42-_Z21sort_keys_values_fullILj64ELj16ELj1ELb0EfcN10test_utils4lessEEvPT3_PT4_T5_
                                        ; -- End function
	.set _Z21sort_keys_values_fullILj64ELj16ELj1ELb0EfcN10test_utils4lessEEvPT3_PT4_T5_.num_vgpr, 21
	.set _Z21sort_keys_values_fullILj64ELj16ELj1ELb0EfcN10test_utils4lessEEvPT3_PT4_T5_.num_agpr, 0
	.set _Z21sort_keys_values_fullILj64ELj16ELj1ELb0EfcN10test_utils4lessEEvPT3_PT4_T5_.numbered_sgpr, 8
	.set _Z21sort_keys_values_fullILj64ELj16ELj1ELb0EfcN10test_utils4lessEEvPT3_PT4_T5_.num_named_barrier, 0
	.set _Z21sort_keys_values_fullILj64ELj16ELj1ELb0EfcN10test_utils4lessEEvPT3_PT4_T5_.private_seg_size, 0
	.set _Z21sort_keys_values_fullILj64ELj16ELj1ELb0EfcN10test_utils4lessEEvPT3_PT4_T5_.uses_vcc, 1
	.set _Z21sort_keys_values_fullILj64ELj16ELj1ELb0EfcN10test_utils4lessEEvPT3_PT4_T5_.uses_flat_scratch, 0
	.set _Z21sort_keys_values_fullILj64ELj16ELj1ELb0EfcN10test_utils4lessEEvPT3_PT4_T5_.has_dyn_sized_stack, 0
	.set _Z21sort_keys_values_fullILj64ELj16ELj1ELb0EfcN10test_utils4lessEEvPT3_PT4_T5_.has_recursion, 0
	.set _Z21sort_keys_values_fullILj64ELj16ELj1ELb0EfcN10test_utils4lessEEvPT3_PT4_T5_.has_indirect_call, 0
	.section	.AMDGPU.csdata,"",@progbits
; Kernel info:
; codeLenInByte = 1528
; TotalNumSgprs: 10
; NumVgprs: 21
; ScratchSize: 0
; MemoryBound: 0
; FloatMode: 240
; IeeeMode: 1
; LDSByteSize: 272 bytes/workgroup (compile time only)
; SGPRBlocks: 0
; VGPRBlocks: 1
; NumSGPRsForWavesPerEU: 10
; NumVGPRsForWavesPerEU: 21
; NamedBarCnt: 0
; Occupancy: 16
; WaveLimiterHint : 0
; COMPUTE_PGM_RSRC2:SCRATCH_EN: 0
; COMPUTE_PGM_RSRC2:USER_SGPR: 2
; COMPUTE_PGM_RSRC2:TRAP_HANDLER: 0
; COMPUTE_PGM_RSRC2:TGID_X_EN: 1
; COMPUTE_PGM_RSRC2:TGID_Y_EN: 0
; COMPUTE_PGM_RSRC2:TGID_Z_EN: 0
; COMPUTE_PGM_RSRC2:TIDIG_COMP_CNT: 0
	.section	.text._Z21sort_keys_values_fullILj256ELj2ELj1ELb0EjiN10test_utils4lessEEvPT3_PT4_T5_,"axG",@progbits,_Z21sort_keys_values_fullILj256ELj2ELj1ELb0EjiN10test_utils4lessEEvPT3_PT4_T5_,comdat
	.protected	_Z21sort_keys_values_fullILj256ELj2ELj1ELb0EjiN10test_utils4lessEEvPT3_PT4_T5_ ; -- Begin function _Z21sort_keys_values_fullILj256ELj2ELj1ELb0EjiN10test_utils4lessEEvPT3_PT4_T5_
	.globl	_Z21sort_keys_values_fullILj256ELj2ELj1ELb0EjiN10test_utils4lessEEvPT3_PT4_T5_
	.p2align	8
	.type	_Z21sort_keys_values_fullILj256ELj2ELj1ELb0EjiN10test_utils4lessEEvPT3_PT4_T5_,@function
_Z21sort_keys_values_fullILj256ELj2ELj1ELb0EjiN10test_utils4lessEEvPT3_PT4_T5_: ; @_Z21sort_keys_values_fullILj256ELj2ELj1ELb0EjiN10test_utils4lessEEvPT3_PT4_T5_
; %bb.0:
	s_load_b128 s[4:7], s[0:1], 0x0
	s_wait_xcnt 0x0
	s_bfe_u32 s0, ttmp6, 0x4000c
	s_and_b32 s1, ttmp6, 15
	s_add_co_i32 s0, s0, 1
	s_getreg_b32 s2, hwreg(HW_REG_IB_STS2, 6, 4)
	s_mul_i32 s0, ttmp9, s0
	s_mov_b32 s3, 0
	s_add_co_i32 s1, s1, s0
	s_cmp_eq_u32 s2, 0
	v_mbcnt_lo_u32_b32 v1, -1, 0
	s_cselect_b32 s0, ttmp9, s1
	s_delay_alu instid0(SALU_CYCLE_1) | instskip(NEXT) | instid1(SALU_CYCLE_1)
	s_lshl_b32 s2, s0, 8
	s_lshl_b64 s[8:9], s[2:3], 2
	s_delay_alu instid0(VALU_DEP_1) | instskip(SKIP_2) | instid1(VALU_DEP_2)
	v_dual_mov_b32 v1, 0 :: v_dual_bitop2_b32 v7, 1, v1 bitop3:0x40
	v_lshrrev_b32_e32 v3, 1, v0
	s_mov_b32 s2, exec_lo
	v_lshlrev_b32_e32 v5, 2, v7
	s_wait_kmcnt 0x0
	s_add_nc_u64 s[0:1], s[4:5], s[8:9]
	s_add_nc_u64 s[4:5], s[6:7], s[8:9]
	s_clause 0x1
	global_load_b32 v2, v0, s[0:1] scale_offset
	global_load_b32 v4, v0, s[4:5] scale_offset
	s_wait_xcnt 0x0
	v_dual_lshlrev_b32 v0, 2, v0 :: v_dual_mov_b32 v8, v1
	v_mad_u32_u24 v5, v3, 12, v5
	v_mul_u32_u24_e32 v6, 12, v3
	; wave barrier
	s_wait_loadcnt 0x1
	ds_store_b32 v5, v2
	; wave barrier
	v_cmpx_eq_u32_e32 1, v7
	s_cbranch_execz .LBB43_4
; %bb.1:
	v_dual_mov_b32 v2, 1 :: v_dual_mov_b32 v8, v1
.LBB43_2:                               ; =>This Inner Loop Header: Depth=1
	s_delay_alu instid0(VALU_DEP_1) | instskip(NEXT) | instid1(VALU_DEP_1)
	v_sub_nc_u32_e32 v3, v2, v8
	v_lshrrev_b32_e32 v3, 1, v3
	s_delay_alu instid0(VALU_DEP_1) | instskip(NEXT) | instid1(VALU_DEP_1)
	v_add_nc_u32_e32 v3, v3, v8
	v_lshlrev_b32_e32 v9, 2, v3
	s_delay_alu instid0(VALU_DEP_1)
	v_dual_add_nc_u32 v10, v6, v9 :: v_dual_sub_nc_u32 v9, v6, v9
	v_add_nc_u32_e32 v11, 1, v3
	ds_load_b32 v10, v10
	ds_load_b32 v9, v9 offset:4
	s_wait_dscnt 0x0
	v_cmp_lt_u32_e32 vcc_lo, v9, v10
	v_dual_cndmask_b32 v2, v2, v3, vcc_lo :: v_dual_cndmask_b32 v8, v11, v8, vcc_lo
	s_delay_alu instid0(VALU_DEP_1) | instskip(SKIP_1) | instid1(SALU_CYCLE_1)
	v_cmp_ge_i32_e32 vcc_lo, v8, v2
	s_or_b32 s3, vcc_lo, s3
	s_and_not1_b32 exec_lo, exec_lo, s3
	s_cbranch_execnz .LBB43_2
; %bb.3:
	s_or_b32 exec_lo, exec_lo, s3
.LBB43_4:
	s_delay_alu instid0(SALU_CYCLE_1)
	s_or_b32 exec_lo, exec_lo, s2
	v_sub_nc_u32_e32 v7, v7, v8
	v_lshl_add_u32 v9, v8, 2, v6
	v_add_nc_u64_e32 v[2:3], s[0:1], v[0:1]
	v_cmp_lt_i32_e32 vcc_lo, 0, v8
	v_add_nc_u64_e32 v[0:1], s[4:5], v[0:1]
	v_lshl_add_u32 v10, v7, 2, v6
	v_add_nc_u32_e32 v7, 1, v7
	ds_load_b32 v9, v9
	ds_load_b32 v10, v10 offset:4
	v_cmp_gt_i32_e64 s1, 2, v7
	; wave barrier
	s_wait_loadcnt 0x0
	ds_store_b32 v5, v4
	; wave barrier
	s_wait_dscnt 0x1
	v_cmp_lt_u32_e64 s0, v10, v9
	s_or_b32 s0, vcc_lo, s0
	s_delay_alu instid0(SALU_CYCLE_1) | instskip(NEXT) | instid1(SALU_CYCLE_1)
	s_and_b32 vcc_lo, s1, s0
	v_dual_cndmask_b32 v7, v8, v7, vcc_lo :: v_dual_cndmask_b32 v9, v9, v10, vcc_lo
	s_delay_alu instid0(VALU_DEP_1)
	v_lshl_add_u32 v6, v7, 2, v6
	ds_load_b32 v4, v6
	global_store_b32 v[2:3], v9, off
	s_wait_dscnt 0x0
	global_store_b32 v[0:1], v4, off
	s_endpgm
	.section	.rodata,"a",@progbits
	.p2align	6, 0x0
	.amdhsa_kernel _Z21sort_keys_values_fullILj256ELj2ELj1ELb0EjiN10test_utils4lessEEvPT3_PT4_T5_
		.amdhsa_group_segment_fixed_size 1536
		.amdhsa_private_segment_fixed_size 0
		.amdhsa_kernarg_size 20
		.amdhsa_user_sgpr_count 2
		.amdhsa_user_sgpr_dispatch_ptr 0
		.amdhsa_user_sgpr_queue_ptr 0
		.amdhsa_user_sgpr_kernarg_segment_ptr 1
		.amdhsa_user_sgpr_dispatch_id 0
		.amdhsa_user_sgpr_kernarg_preload_length 0
		.amdhsa_user_sgpr_kernarg_preload_offset 0
		.amdhsa_user_sgpr_private_segment_size 0
		.amdhsa_wavefront_size32 1
		.amdhsa_uses_dynamic_stack 0
		.amdhsa_enable_private_segment 0
		.amdhsa_system_sgpr_workgroup_id_x 1
		.amdhsa_system_sgpr_workgroup_id_y 0
		.amdhsa_system_sgpr_workgroup_id_z 0
		.amdhsa_system_sgpr_workgroup_info 0
		.amdhsa_system_vgpr_workitem_id 0
		.amdhsa_next_free_vgpr 12
		.amdhsa_next_free_sgpr 10
		.amdhsa_named_barrier_count 0
		.amdhsa_reserve_vcc 1
		.amdhsa_float_round_mode_32 0
		.amdhsa_float_round_mode_16_64 0
		.amdhsa_float_denorm_mode_32 3
		.amdhsa_float_denorm_mode_16_64 3
		.amdhsa_fp16_overflow 0
		.amdhsa_memory_ordered 1
		.amdhsa_forward_progress 1
		.amdhsa_inst_pref_size 4
		.amdhsa_round_robin_scheduling 0
		.amdhsa_exception_fp_ieee_invalid_op 0
		.amdhsa_exception_fp_denorm_src 0
		.amdhsa_exception_fp_ieee_div_zero 0
		.amdhsa_exception_fp_ieee_overflow 0
		.amdhsa_exception_fp_ieee_underflow 0
		.amdhsa_exception_fp_ieee_inexact 0
		.amdhsa_exception_int_div_zero 0
	.end_amdhsa_kernel
	.section	.text._Z21sort_keys_values_fullILj256ELj2ELj1ELb0EjiN10test_utils4lessEEvPT3_PT4_T5_,"axG",@progbits,_Z21sort_keys_values_fullILj256ELj2ELj1ELb0EjiN10test_utils4lessEEvPT3_PT4_T5_,comdat
.Lfunc_end43:
	.size	_Z21sort_keys_values_fullILj256ELj2ELj1ELb0EjiN10test_utils4lessEEvPT3_PT4_T5_, .Lfunc_end43-_Z21sort_keys_values_fullILj256ELj2ELj1ELb0EjiN10test_utils4lessEEvPT3_PT4_T5_
                                        ; -- End function
	.set _Z21sort_keys_values_fullILj256ELj2ELj1ELb0EjiN10test_utils4lessEEvPT3_PT4_T5_.num_vgpr, 12
	.set _Z21sort_keys_values_fullILj256ELj2ELj1ELb0EjiN10test_utils4lessEEvPT3_PT4_T5_.num_agpr, 0
	.set _Z21sort_keys_values_fullILj256ELj2ELj1ELb0EjiN10test_utils4lessEEvPT3_PT4_T5_.numbered_sgpr, 10
	.set _Z21sort_keys_values_fullILj256ELj2ELj1ELb0EjiN10test_utils4lessEEvPT3_PT4_T5_.num_named_barrier, 0
	.set _Z21sort_keys_values_fullILj256ELj2ELj1ELb0EjiN10test_utils4lessEEvPT3_PT4_T5_.private_seg_size, 0
	.set _Z21sort_keys_values_fullILj256ELj2ELj1ELb0EjiN10test_utils4lessEEvPT3_PT4_T5_.uses_vcc, 1
	.set _Z21sort_keys_values_fullILj256ELj2ELj1ELb0EjiN10test_utils4lessEEvPT3_PT4_T5_.uses_flat_scratch, 0
	.set _Z21sort_keys_values_fullILj256ELj2ELj1ELb0EjiN10test_utils4lessEEvPT3_PT4_T5_.has_dyn_sized_stack, 0
	.set _Z21sort_keys_values_fullILj256ELj2ELj1ELb0EjiN10test_utils4lessEEvPT3_PT4_T5_.has_recursion, 0
	.set _Z21sort_keys_values_fullILj256ELj2ELj1ELb0EjiN10test_utils4lessEEvPT3_PT4_T5_.has_indirect_call, 0
	.section	.AMDGPU.csdata,"",@progbits
; Kernel info:
; codeLenInByte = 472
; TotalNumSgprs: 12
; NumVgprs: 12
; ScratchSize: 0
; MemoryBound: 0
; FloatMode: 240
; IeeeMode: 1
; LDSByteSize: 1536 bytes/workgroup (compile time only)
; SGPRBlocks: 0
; VGPRBlocks: 0
; NumSGPRsForWavesPerEU: 12
; NumVGPRsForWavesPerEU: 12
; NamedBarCnt: 0
; Occupancy: 16
; WaveLimiterHint : 0
; COMPUTE_PGM_RSRC2:SCRATCH_EN: 0
; COMPUTE_PGM_RSRC2:USER_SGPR: 2
; COMPUTE_PGM_RSRC2:TRAP_HANDLER: 0
; COMPUTE_PGM_RSRC2:TGID_X_EN: 1
; COMPUTE_PGM_RSRC2:TGID_Y_EN: 0
; COMPUTE_PGM_RSRC2:TGID_Z_EN: 0
; COMPUTE_PGM_RSRC2:TIDIG_COMP_CNT: 0
	.section	.AMDGPU.gpr_maximums,"",@progbits
	.set amdgpu.max_num_vgpr, 0
	.set amdgpu.max_num_agpr, 0
	.set amdgpu.max_num_sgpr, 0
	.section	.AMDGPU.csdata,"",@progbits
	.protected	_ZN9sort_lastIN10test_utils4lessENS0_16custom_test_typeIfEEE5valueE ; @_ZN9sort_lastIN10test_utils4lessENS0_16custom_test_typeIfEEE5valueE
	.type	_ZN9sort_lastIN10test_utils4lessENS0_16custom_test_typeIfEEE5valueE,@object
	.section	.rodata._ZN9sort_lastIN10test_utils4lessENS0_16custom_test_typeIfEEE5valueE,"aG",@progbits,_ZN9sort_lastIN10test_utils4lessENS0_16custom_test_typeIfEEE5valueE,comdat
	.weak	_ZN9sort_lastIN10test_utils4lessENS0_16custom_test_typeIfEEE5valueE
	.p2align	2, 0x0
_ZN9sort_lastIN10test_utils4lessENS0_16custom_test_typeIfEEE5valueE:
	.long	0x7f7fffff                      ; float 3.40282347E+38
	.long	0x7f7fffff                      ; float 3.40282347E+38
	.size	_ZN9sort_lastIN10test_utils4lessENS0_16custom_test_typeIfEEE5valueE, 8

	.type	__hip_cuid_fd380677911adcb1,@object ; @__hip_cuid_fd380677911adcb1
	.section	.bss,"aw",@nobits
	.globl	__hip_cuid_fd380677911adcb1
__hip_cuid_fd380677911adcb1:
	.byte	0                               ; 0x0
	.size	__hip_cuid_fd380677911adcb1, 1

	.ident	"AMD clang version 22.0.0git (https://github.com/RadeonOpenCompute/llvm-project roc-7.2.4 26084 f58b06dce1f9c15707c5f808fd002e18c2accf7e)"
	.section	".note.GNU-stack","",@progbits
	.addrsig
	.addrsig_sym __hip_cuid_fd380677911adcb1
	.amdgpu_metadata
---
amdhsa.kernels:
  - .args:
      - .address_space:  global
        .offset:         0
        .size:           8
        .value_kind:     global_buffer
      - .address_space:  global
        .offset:         8
        .size:           8
        .value_kind:     global_buffer
      - .offset:         16
        .size:           1
        .value_kind:     by_value
    .group_segment_fixed_size: 7200
    .kernarg_segment_align: 8
    .kernarg_segment_size: 20
    .language:       OpenCL C
    .language_version:
      - 2
      - 0
    .max_flat_workgroup_size: 256
    .name:           _Z19sort_keys_segmentedILj256ELj32ELj7ELb0EiN10test_utils7greaterEEvPT3_PKjT4_
    .private_segment_fixed_size: 0
    .sgpr_count:     16
    .sgpr_spill_count: 0
    .symbol:         _Z19sort_keys_segmentedILj256ELj32ELj7ELb0EiN10test_utils7greaterEEvPT3_PKjT4_.kd
    .uniform_work_group_size: 1
    .uses_dynamic_stack: false
    .vgpr_count:     28
    .vgpr_spill_count: 0
    .wavefront_size: 32
  - .args:
      - .address_space:  global
        .offset:         0
        .size:           8
        .value_kind:     global_buffer
      - .address_space:  global
        .offset:         8
        .size:           8
        .value_kind:     global_buffer
      - .offset:         16
        .size:           1
        .value_kind:     by_value
    .group_segment_fixed_size: 8448
    .kernarg_segment_align: 8
    .kernarg_segment_size: 20
    .language:       OpenCL C
    .language_version:
      - 2
      - 0
    .max_flat_workgroup_size: 256
    .name:           _Z19sort_keys_segmentedILj256ELj8ELj4ELb1ExN10test_utils4lessEEvPT3_PKjT4_
    .private_segment_fixed_size: 0
    .sgpr_count:     10
    .sgpr_spill_count: 0
    .symbol:         _Z19sort_keys_segmentedILj256ELj8ELj4ELb1ExN10test_utils4lessEEvPT3_PKjT4_.kd
    .uniform_work_group_size: 1
    .uses_dynamic_stack: false
    .vgpr_count:     32
    .vgpr_spill_count: 0
    .wavefront_size: 32
  - .args:
      - .address_space:  global
        .offset:         0
        .size:           8
        .value_kind:     global_buffer
      - .address_space:  global
        .offset:         8
        .size:           8
        .value_kind:     global_buffer
      - .offset:         16
        .size:           1
        .value_kind:     by_value
    .group_segment_fixed_size: 16448
    .kernarg_segment_align: 8
    .kernarg_segment_size: 20
    .language:       OpenCL C
    .language_version:
      - 2
      - 0
    .max_flat_workgroup_size: 256
    .name:           _Z19sort_keys_segmentedILj256ELj32ELj8ELb0EN10test_utils16custom_test_typeIfEENS0_4lessEEvPT3_PKjT4_
    .private_segment_fixed_size: 0
    .sgpr_count:     21
    .sgpr_spill_count: 0
    .symbol:         _Z19sort_keys_segmentedILj256ELj32ELj8ELb0EN10test_utils16custom_test_typeIfEENS0_4lessEEvPT3_PKjT4_.kd
    .uniform_work_group_size: 1
    .uses_dynamic_stack: false
    .vgpr_count:     43
    .vgpr_spill_count: 0
    .wavefront_size: 32
  - .args:
      - .address_space:  global
        .offset:         0
        .size:           8
        .value_kind:     global_buffer
      - .address_space:  global
        .offset:         8
        .size:           8
        .value_kind:     global_buffer
      - .offset:         16
        .size:           1
        .value_kind:     by_value
    .group_segment_fixed_size: 8256
    .kernarg_segment_align: 8
    .kernarg_segment_size: 20
    .language:       OpenCL C
    .language_version:
      - 2
      - 0
    .max_flat_workgroup_size: 256
    .name:           _Z19sort_keys_segmentedILj256ELj32ELj4ELb0EN10test_utils16custom_test_typeIfEENS0_4lessEEvPT3_PKjT4_
    .private_segment_fixed_size: 0
    .sgpr_count:     13
    .sgpr_spill_count: 0
    .symbol:         _Z19sort_keys_segmentedILj256ELj32ELj4ELb0EN10test_utils16custom_test_typeIfEENS0_4lessEEvPT3_PKjT4_.kd
    .uniform_work_group_size: 1
    .uses_dynamic_stack: false
    .vgpr_count:     27
    .vgpr_spill_count: 0
    .wavefront_size: 32
  - .args:
      - .address_space:  global
        .offset:         0
        .size:           8
        .value_kind:     global_buffer
      - .address_space:  global
        .offset:         8
        .size:           8
        .value_kind:     global_buffer
      - .offset:         16
        .size:           1
        .value_kind:     by_value
    .group_segment_fixed_size: 4160
    .kernarg_segment_align: 8
    .kernarg_segment_size: 20
    .language:       OpenCL C
    .language_version:
      - 2
      - 0
    .max_flat_workgroup_size: 256
    .name:           _Z19sort_keys_segmentedILj256ELj32ELj2ELb0EN10test_utils16custom_test_typeIfEENS0_4lessEEvPT3_PKjT4_
    .private_segment_fixed_size: 0
    .sgpr_count:     10
    .sgpr_spill_count: 0
    .symbol:         _Z19sort_keys_segmentedILj256ELj32ELj2ELb0EN10test_utils16custom_test_typeIfEENS0_4lessEEvPT3_PKjT4_.kd
    .uniform_work_group_size: 1
    .uses_dynamic_stack: false
    .vgpr_count:     21
    .vgpr_spill_count: 0
    .wavefront_size: 32
  - .args:
      - .address_space:  global
        .offset:         0
        .size:           8
        .value_kind:     global_buffer
      - .address_space:  global
        .offset:         8
        .size:           8
        .value_kind:     global_buffer
      - .offset:         16
        .size:           1
        .value_kind:     by_value
    .group_segment_fixed_size: 66
    .kernarg_segment_align: 8
    .kernarg_segment_size: 20
    .language:       OpenCL C
    .language_version:
      - 2
      - 0
    .max_flat_workgroup_size: 32
    .name:           _Z19sort_keys_segmentedILj32ELj32ELj1ELb0E12hip_bfloat16N10test_utils4lessEEvPT3_PKjT4_
    .private_segment_fixed_size: 0
    .sgpr_count:     9
    .sgpr_spill_count: 0
    .symbol:         _Z19sort_keys_segmentedILj32ELj32ELj1ELb0E12hip_bfloat16N10test_utils4lessEEvPT3_PKjT4_.kd
    .uniform_work_group_size: 1
    .uses_dynamic_stack: false
    .vgpr_count:     16
    .vgpr_spill_count: 0
    .wavefront_size: 32
  - .args:
      - .address_space:  global
        .offset:         0
        .size:           8
        .value_kind:     global_buffer
      - .address_space:  global
        .offset:         8
        .size:           8
        .value_kind:     global_buffer
      - .offset:         16
        .size:           1
        .value_kind:     by_value
    .group_segment_fixed_size: 66
    .kernarg_segment_align: 8
    .kernarg_segment_size: 20
    .language:       OpenCL C
    .language_version:
      - 2
      - 0
    .max_flat_workgroup_size: 32
    .name:           _Z19sort_keys_segmentedILj32ELj32ELj1ELb0E6__halfN10test_utils4lessEEvPT3_PKjT4_
    .private_segment_fixed_size: 0
    .sgpr_count:     9
    .sgpr_spill_count: 0
    .symbol:         _Z19sort_keys_segmentedILj32ELj32ELj1ELb0E6__halfN10test_utils4lessEEvPT3_PKjT4_.kd
    .uniform_work_group_size: 1
    .uses_dynamic_stack: false
    .vgpr_count:     15
    .vgpr_spill_count: 0
    .wavefront_size: 32
  - .args:
      - .address_space:  global
        .offset:         0
        .size:           8
        .value_kind:     global_buffer
      - .address_space:  global
        .offset:         8
        .size:           8
        .value_kind:     global_buffer
      - .offset:         16
        .size:           1
        .value_kind:     by_value
    .group_segment_fixed_size: 1040
    .kernarg_segment_align: 8
    .kernarg_segment_size: 20
    .language:       OpenCL C
    .language_version:
      - 2
      - 0
    .max_flat_workgroup_size: 512
    .name:           _Z19sort_keys_segmentedILj512ELj64ELj1ELb0EsN10test_utils4lessEEvPT3_PKjT4_
    .private_segment_fixed_size: 0
    .sgpr_count:     9
    .sgpr_spill_count: 0
    .symbol:         _Z19sort_keys_segmentedILj512ELj64ELj1ELb0EsN10test_utils4lessEEvPT3_PKjT4_.kd
    .uniform_work_group_size: 1
    .uses_dynamic_stack: false
    .vgpr_count:     19
    .vgpr_spill_count: 0
    .wavefront_size: 32
  - .args:
      - .address_space:  global
        .offset:         0
        .size:           8
        .value_kind:     global_buffer
      - .address_space:  global
        .offset:         8
        .size:           8
        .value_kind:     global_buffer
      - .offset:         16
        .size:           1
        .value_kind:     by_value
    .group_segment_fixed_size: 264
    .kernarg_segment_align: 8
    .kernarg_segment_size: 20
    .language:       OpenCL C
    .language_version:
      - 2
      - 0
    .max_flat_workgroup_size: 32
    .name:           _Z19sort_keys_segmentedILj32ELj32ELj1ELb0EdN10test_utils4lessEEvPT3_PKjT4_
    .private_segment_fixed_size: 0
    .sgpr_count:     9
    .sgpr_spill_count: 0
    .symbol:         _Z19sort_keys_segmentedILj32ELj32ELj1ELb0EdN10test_utils4lessEEvPT3_PKjT4_.kd
    .uniform_work_group_size: 1
    .uses_dynamic_stack: false
    .vgpr_count:     17
    .vgpr_spill_count: 0
    .wavefront_size: 32
  - .args:
      - .address_space:  global
        .offset:         0
        .size:           8
        .value_kind:     global_buffer
      - .address_space:  global
        .offset:         8
        .size:           8
        .value_kind:     global_buffer
      - .offset:         16
        .size:           1
        .value_kind:     by_value
    .group_segment_fixed_size: 272
    .kernarg_segment_align: 8
    .kernarg_segment_size: 20
    .language:       OpenCL C
    .language_version:
      - 2
      - 0
    .max_flat_workgroup_size: 64
    .name:           _Z19sort_keys_segmentedILj64ELj16ELj1ELb0EfN10test_utils4lessEEvPT3_PKjT4_
    .private_segment_fixed_size: 0
    .sgpr_count:     9
    .sgpr_spill_count: 0
    .symbol:         _Z19sort_keys_segmentedILj64ELj16ELj1ELb0EfN10test_utils4lessEEvPT3_PKjT4_.kd
    .uniform_work_group_size: 1
    .uses_dynamic_stack: false
    .vgpr_count:     20
    .vgpr_spill_count: 0
    .wavefront_size: 32
  - .args:
      - .address_space:  global
        .offset:         0
        .size:           8
        .value_kind:     global_buffer
      - .address_space:  global
        .offset:         8
        .size:           8
        .value_kind:     global_buffer
      - .offset:         16
        .size:           1
        .value_kind:     by_value
    .group_segment_fixed_size: 1536
    .kernarg_segment_align: 8
    .kernarg_segment_size: 20
    .language:       OpenCL C
    .language_version:
      - 2
      - 0
    .max_flat_workgroup_size: 256
    .name:           _Z19sort_keys_segmentedILj256ELj2ELj1ELb0EjN10test_utils4lessEEvPT3_PKjT4_
    .private_segment_fixed_size: 0
    .sgpr_count:     9
    .sgpr_spill_count: 0
    .symbol:         _Z19sort_keys_segmentedILj256ELj2ELj1ELb0EjN10test_utils4lessEEvPT3_PKjT4_.kd
    .uniform_work_group_size: 1
    .uses_dynamic_stack: false
    .vgpr_count:     16
    .vgpr_spill_count: 0
    .wavefront_size: 32
  - .args:
      - .address_space:  global
        .offset:         0
        .size:           8
        .value_kind:     global_buffer
      - .address_space:  global
        .offset:         8
        .size:           8
        .value_kind:     global_buffer
      - .address_space:  global
        .offset:         16
        .size:           8
        .value_kind:     global_buffer
      - .offset:         24
        .size:           1
        .value_kind:     by_value
    .group_segment_fixed_size: 7200
    .kernarg_segment_align: 8
    .kernarg_segment_size: 28
    .language:       OpenCL C
    .language_version:
      - 2
      - 0
    .max_flat_workgroup_size: 256
    .name:           _Z26sort_keys_values_segmentedILj256ELj32ELj7ELb0EiN10test_utils16custom_test_typeIsEENS0_7greaterEEvPT3_PT4_PKjT5_
    .private_segment_fixed_size: 0
    .sgpr_count:     17
    .sgpr_spill_count: 0
    .symbol:         _Z26sort_keys_values_segmentedILj256ELj32ELj7ELb0EiN10test_utils16custom_test_typeIsEENS0_7greaterEEvPT3_PT4_PKjT5_.kd
    .uniform_work_group_size: 1
    .uses_dynamic_stack: false
    .vgpr_count:     46
    .vgpr_spill_count: 0
    .wavefront_size: 32
  - .args:
      - .address_space:  global
        .offset:         0
        .size:           8
        .value_kind:     global_buffer
      - .address_space:  global
        .offset:         8
        .size:           8
        .value_kind:     global_buffer
      - .address_space:  global
        .offset:         16
        .size:           8
        .value_kind:     global_buffer
      - .offset:         24
        .size:           1
        .value_kind:     by_value
    .group_segment_fixed_size: 8448
    .kernarg_segment_align: 8
    .kernarg_segment_size: 28
    .language:       OpenCL C
    .language_version:
      - 2
      - 0
    .max_flat_workgroup_size: 256
    .name:           _Z26sort_keys_values_segmentedILj256ELj8ELj4ELb1ExsN10test_utils4lessEEvPT3_PT4_PKjT5_
    .private_segment_fixed_size: 0
    .sgpr_count:     11
    .sgpr_spill_count: 0
    .symbol:         _Z26sort_keys_values_segmentedILj256ELj8ELj4ELb1ExsN10test_utils4lessEEvPT3_PT4_PKjT5_.kd
    .uniform_work_group_size: 1
    .uses_dynamic_stack: false
    .vgpr_count:     39
    .vgpr_spill_count: 0
    .wavefront_size: 32
  - .args:
      - .address_space:  global
        .offset:         0
        .size:           8
        .value_kind:     global_buffer
      - .address_space:  global
        .offset:         8
        .size:           8
        .value_kind:     global_buffer
      - .address_space:  global
        .offset:         16
        .size:           8
        .value_kind:     global_buffer
      - .offset:         24
        .size:           1
        .value_kind:     by_value
    .group_segment_fixed_size: 16448
    .kernarg_segment_align: 8
    .kernarg_segment_size: 28
    .language:       OpenCL C
    .language_version:
      - 2
      - 0
    .max_flat_workgroup_size: 256
    .name:           _Z26sort_keys_values_segmentedILj256ELj32ELj8ELb0EN10test_utils16custom_test_typeIfEEiNS0_4lessEEvPT3_PT4_PKjT5_
    .private_segment_fixed_size: 0
    .sgpr_count:     21
    .sgpr_spill_count: 0
    .symbol:         _Z26sort_keys_values_segmentedILj256ELj32ELj8ELb0EN10test_utils16custom_test_typeIfEEiNS0_4lessEEvPT3_PT4_PKjT5_.kd
    .uniform_work_group_size: 1
    .uses_dynamic_stack: false
    .vgpr_count:     67
    .vgpr_spill_count: 0
    .wavefront_size: 32
  - .args:
      - .address_space:  global
        .offset:         0
        .size:           8
        .value_kind:     global_buffer
      - .address_space:  global
        .offset:         8
        .size:           8
        .value_kind:     global_buffer
      - .address_space:  global
        .offset:         16
        .size:           8
        .value_kind:     global_buffer
      - .offset:         24
        .size:           1
        .value_kind:     by_value
    .group_segment_fixed_size: 8256
    .kernarg_segment_align: 8
    .kernarg_segment_size: 28
    .language:       OpenCL C
    .language_version:
      - 2
      - 0
    .max_flat_workgroup_size: 256
    .name:           _Z26sort_keys_values_segmentedILj256ELj32ELj4ELb0EN10test_utils16custom_test_typeIfEEiNS0_4lessEEvPT3_PT4_PKjT5_
    .private_segment_fixed_size: 0
    .sgpr_count:     13
    .sgpr_spill_count: 0
    .symbol:         _Z26sort_keys_values_segmentedILj256ELj32ELj4ELb0EN10test_utils16custom_test_typeIfEEiNS0_4lessEEvPT3_PT4_PKjT5_.kd
    .uniform_work_group_size: 1
    .uses_dynamic_stack: false
    .vgpr_count:     44
    .vgpr_spill_count: 0
    .wavefront_size: 32
  - .args:
      - .address_space:  global
        .offset:         0
        .size:           8
        .value_kind:     global_buffer
      - .address_space:  global
        .offset:         8
        .size:           8
        .value_kind:     global_buffer
      - .address_space:  global
        .offset:         16
        .size:           8
        .value_kind:     global_buffer
      - .offset:         24
        .size:           1
        .value_kind:     by_value
    .group_segment_fixed_size: 4160
    .kernarg_segment_align: 8
    .kernarg_segment_size: 28
    .language:       OpenCL C
    .language_version:
      - 2
      - 0
    .max_flat_workgroup_size: 256
    .name:           _Z26sort_keys_values_segmentedILj256ELj32ELj2ELb0EN10test_utils16custom_test_typeIfEEyNS0_4lessEEvPT3_PT4_PKjT5_
    .private_segment_fixed_size: 0
    .sgpr_count:     10
    .sgpr_spill_count: 0
    .symbol:         _Z26sort_keys_values_segmentedILj256ELj32ELj2ELb0EN10test_utils16custom_test_typeIfEEyNS0_4lessEEvPT3_PT4_PKjT5_.kd
    .uniform_work_group_size: 1
    .uses_dynamic_stack: false
    .vgpr_count:     27
    .vgpr_spill_count: 0
    .wavefront_size: 32
  - .args:
      - .address_space:  global
        .offset:         0
        .size:           8
        .value_kind:     global_buffer
      - .address_space:  global
        .offset:         8
        .size:           8
        .value_kind:     global_buffer
      - .address_space:  global
        .offset:         16
        .size:           8
        .value_kind:     global_buffer
      - .offset:         24
        .size:           1
        .value_kind:     by_value
    .group_segment_fixed_size: 132
    .kernarg_segment_align: 8
    .kernarg_segment_size: 28
    .language:       OpenCL C
    .language_version:
      - 2
      - 0
    .max_flat_workgroup_size: 32
    .name:           _Z26sort_keys_values_segmentedILj32ELj32ELj1ELb0E12hip_bfloat16iN10test_utils4lessEEvPT3_PT4_PKjT5_
    .private_segment_fixed_size: 0
    .sgpr_count:     10
    .sgpr_spill_count: 0
    .symbol:         _Z26sort_keys_values_segmentedILj32ELj32ELj1ELb0E12hip_bfloat16iN10test_utils4lessEEvPT3_PT4_PKjT5_.kd
    .uniform_work_group_size: 1
    .uses_dynamic_stack: false
    .vgpr_count:     20
    .vgpr_spill_count: 0
    .wavefront_size: 32
  - .args:
      - .address_space:  global
        .offset:         0
        .size:           8
        .value_kind:     global_buffer
      - .address_space:  global
        .offset:         8
        .size:           8
        .value_kind:     global_buffer
      - .address_space:  global
        .offset:         16
        .size:           8
        .value_kind:     global_buffer
      - .offset:         24
        .size:           1
        .value_kind:     by_value
    .group_segment_fixed_size: 132
    .kernarg_segment_align: 8
    .kernarg_segment_size: 28
    .language:       OpenCL C
    .language_version:
      - 2
      - 0
    .max_flat_workgroup_size: 32
    .name:           _Z26sort_keys_values_segmentedILj32ELj32ELj1ELb0E6__halfiN10test_utils4lessEEvPT3_PT4_PKjT5_
    .private_segment_fixed_size: 0
    .sgpr_count:     10
    .sgpr_spill_count: 0
    .symbol:         _Z26sort_keys_values_segmentedILj32ELj32ELj1ELb0E6__halfiN10test_utils4lessEEvPT3_PT4_PKjT5_.kd
    .uniform_work_group_size: 1
    .uses_dynamic_stack: false
    .vgpr_count:     20
    .vgpr_spill_count: 0
    .wavefront_size: 32
  - .args:
      - .address_space:  global
        .offset:         0
        .size:           8
        .value_kind:     global_buffer
      - .address_space:  global
        .offset:         8
        .size:           8
        .value_kind:     global_buffer
      - .address_space:  global
        .offset:         16
        .size:           8
        .value_kind:     global_buffer
      - .offset:         24
        .size:           1
        .value_kind:     by_value
    .group_segment_fixed_size: 2080
    .kernarg_segment_align: 8
    .kernarg_segment_size: 28
    .language:       OpenCL C
    .language_version:
      - 2
      - 0
    .max_flat_workgroup_size: 512
    .name:           _Z26sort_keys_values_segmentedILj512ELj64ELj1ELb0EsiN10test_utils4lessEEvPT3_PT4_PKjT5_
    .private_segment_fixed_size: 0
    .sgpr_count:     9
    .sgpr_spill_count: 0
    .symbol:         _Z26sort_keys_values_segmentedILj512ELj64ELj1ELb0EsiN10test_utils4lessEEvPT3_PT4_PKjT5_.kd
    .uniform_work_group_size: 1
    .uses_dynamic_stack: false
    .vgpr_count:     24
    .vgpr_spill_count: 0
    .wavefront_size: 32
  - .args:
      - .address_space:  global
        .offset:         0
        .size:           8
        .value_kind:     global_buffer
      - .address_space:  global
        .offset:         8
        .size:           8
        .value_kind:     global_buffer
      - .address_space:  global
        .offset:         16
        .size:           8
        .value_kind:     global_buffer
      - .offset:         24
        .size:           1
        .value_kind:     by_value
    .group_segment_fixed_size: 264
    .kernarg_segment_align: 8
    .kernarg_segment_size: 28
    .language:       OpenCL C
    .language_version:
      - 2
      - 0
    .max_flat_workgroup_size: 32
    .name:           _Z26sort_keys_values_segmentedILj32ELj32ELj1ELb0EdiN10test_utils4lessEEvPT3_PT4_PKjT5_
    .private_segment_fixed_size: 0
    .sgpr_count:     10
    .sgpr_spill_count: 0
    .symbol:         _Z26sort_keys_values_segmentedILj32ELj32ELj1ELb0EdiN10test_utils4lessEEvPT3_PT4_PKjT5_.kd
    .uniform_work_group_size: 1
    .uses_dynamic_stack: false
    .vgpr_count:     21
    .vgpr_spill_count: 0
    .wavefront_size: 32
  - .args:
      - .address_space:  global
        .offset:         0
        .size:           8
        .value_kind:     global_buffer
      - .address_space:  global
        .offset:         8
        .size:           8
        .value_kind:     global_buffer
      - .address_space:  global
        .offset:         16
        .size:           8
        .value_kind:     global_buffer
      - .offset:         24
        .size:           1
        .value_kind:     by_value
    .group_segment_fixed_size: 272
    .kernarg_segment_align: 8
    .kernarg_segment_size: 28
    .language:       OpenCL C
    .language_version:
      - 2
      - 0
    .max_flat_workgroup_size: 64
    .name:           _Z26sort_keys_values_segmentedILj64ELj16ELj1ELb0EfcN10test_utils4lessEEvPT3_PT4_PKjT5_
    .private_segment_fixed_size: 0
    .sgpr_count:     9
    .sgpr_spill_count: 0
    .symbol:         _Z26sort_keys_values_segmentedILj64ELj16ELj1ELb0EfcN10test_utils4lessEEvPT3_PT4_PKjT5_.kd
    .uniform_work_group_size: 1
    .uses_dynamic_stack: false
    .vgpr_count:     24
    .vgpr_spill_count: 0
    .wavefront_size: 32
  - .args:
      - .address_space:  global
        .offset:         0
        .size:           8
        .value_kind:     global_buffer
      - .address_space:  global
        .offset:         8
        .size:           8
        .value_kind:     global_buffer
      - .address_space:  global
        .offset:         16
        .size:           8
        .value_kind:     global_buffer
      - .offset:         24
        .size:           1
        .value_kind:     by_value
    .group_segment_fixed_size: 1536
    .kernarg_segment_align: 8
    .kernarg_segment_size: 28
    .language:       OpenCL C
    .language_version:
      - 2
      - 0
    .max_flat_workgroup_size: 256
    .name:           _Z26sort_keys_values_segmentedILj256ELj2ELj1ELb0EjiN10test_utils4lessEEvPT3_PT4_PKjT5_
    .private_segment_fixed_size: 0
    .sgpr_count:     9
    .sgpr_spill_count: 0
    .symbol:         _Z26sort_keys_values_segmentedILj256ELj2ELj1ELb0EjiN10test_utils4lessEEvPT3_PT4_PKjT5_.kd
    .uniform_work_group_size: 1
    .uses_dynamic_stack: false
    .vgpr_count:     20
    .vgpr_spill_count: 0
    .wavefront_size: 32
  - .args:
      - .address_space:  global
        .offset:         0
        .size:           8
        .value_kind:     global_buffer
      - .offset:         8
        .size:           1
        .value_kind:     by_value
    .group_segment_fixed_size: 7200
    .kernarg_segment_align: 8
    .kernarg_segment_size: 12
    .language:       OpenCL C
    .language_version:
      - 2
      - 0
    .max_flat_workgroup_size: 256
    .name:           _Z14sort_keys_fullILj256ELj32ELj7ELb0EiN10test_utils7greaterEEvPT3_T4_
    .private_segment_fixed_size: 0
    .sgpr_count:     10
    .sgpr_spill_count: 0
    .symbol:         _Z14sort_keys_fullILj256ELj32ELj7ELb0EiN10test_utils7greaterEEvPT3_T4_.kd
    .uniform_work_group_size: 1
    .uses_dynamic_stack: false
    .vgpr_count:     28
    .vgpr_spill_count: 0
    .wavefront_size: 32
  - .args:
      - .address_space:  global
        .offset:         0
        .size:           8
        .value_kind:     global_buffer
      - .offset:         8
        .size:           1
        .value_kind:     by_value
    .group_segment_fixed_size: 8448
    .kernarg_segment_align: 8
    .kernarg_segment_size: 12
    .language:       OpenCL C
    .language_version:
      - 2
      - 0
    .max_flat_workgroup_size: 256
    .name:           _Z14sort_keys_fullILj256ELj8ELj4ELb1ExN10test_utils4lessEEvPT3_T4_
    .private_segment_fixed_size: 0
    .sgpr_count:     8
    .sgpr_spill_count: 0
    .symbol:         _Z14sort_keys_fullILj256ELj8ELj4ELb1ExN10test_utils4lessEEvPT3_T4_.kd
    .uniform_work_group_size: 1
    .uses_dynamic_stack: false
    .vgpr_count:     36
    .vgpr_spill_count: 0
    .wavefront_size: 32
  - .args:
      - .address_space:  global
        .offset:         0
        .size:           8
        .value_kind:     global_buffer
      - .offset:         8
        .size:           1
        .value_kind:     by_value
    .group_segment_fixed_size: 16448
    .kernarg_segment_align: 8
    .kernarg_segment_size: 12
    .language:       OpenCL C
    .language_version:
      - 2
      - 0
    .max_flat_workgroup_size: 256
    .name:           _Z14sort_keys_fullILj256ELj32ELj8ELb0EN10test_utils16custom_test_typeIfEENS0_4lessEEvPT3_T4_
    .private_segment_fixed_size: 0
    .sgpr_count:     16
    .sgpr_spill_count: 0
    .symbol:         _Z14sort_keys_fullILj256ELj32ELj8ELb0EN10test_utils16custom_test_typeIfEENS0_4lessEEvPT3_T4_.kd
    .uniform_work_group_size: 1
    .uses_dynamic_stack: false
    .vgpr_count:     42
    .vgpr_spill_count: 0
    .wavefront_size: 32
  - .args:
      - .address_space:  global
        .offset:         0
        .size:           8
        .value_kind:     global_buffer
      - .offset:         8
        .size:           1
        .value_kind:     by_value
    .group_segment_fixed_size: 8256
    .kernarg_segment_align: 8
    .kernarg_segment_size: 12
    .language:       OpenCL C
    .language_version:
      - 2
      - 0
    .max_flat_workgroup_size: 256
    .name:           _Z14sort_keys_fullILj256ELj32ELj4ELb0EN10test_utils16custom_test_typeIfEENS0_4lessEEvPT3_T4_
    .private_segment_fixed_size: 0
    .sgpr_count:     10
    .sgpr_spill_count: 0
    .symbol:         _Z14sort_keys_fullILj256ELj32ELj4ELb0EN10test_utils16custom_test_typeIfEENS0_4lessEEvPT3_T4_.kd
    .uniform_work_group_size: 1
    .uses_dynamic_stack: false
    .vgpr_count:     26
    .vgpr_spill_count: 0
    .wavefront_size: 32
  - .args:
      - .address_space:  global
        .offset:         0
        .size:           8
        .value_kind:     global_buffer
      - .offset:         8
        .size:           1
        .value_kind:     by_value
    .group_segment_fixed_size: 4160
    .kernarg_segment_align: 8
    .kernarg_segment_size: 12
    .language:       OpenCL C
    .language_version:
      - 2
      - 0
    .max_flat_workgroup_size: 256
    .name:           _Z14sort_keys_fullILj256ELj32ELj2ELb0EN10test_utils16custom_test_typeIfEENS0_4lessEEvPT3_T4_
    .private_segment_fixed_size: 0
    .sgpr_count:     10
    .sgpr_spill_count: 0
    .symbol:         _Z14sort_keys_fullILj256ELj32ELj2ELb0EN10test_utils16custom_test_typeIfEENS0_4lessEEvPT3_T4_.kd
    .uniform_work_group_size: 1
    .uses_dynamic_stack: false
    .vgpr_count:     20
    .vgpr_spill_count: 0
    .wavefront_size: 32
  - .args:
      - .address_space:  global
        .offset:         0
        .size:           8
        .value_kind:     global_buffer
      - .offset:         8
        .size:           1
        .value_kind:     by_value
    .group_segment_fixed_size: 66
    .kernarg_segment_align: 8
    .kernarg_segment_size: 12
    .language:       OpenCL C
    .language_version:
      - 2
      - 0
    .max_flat_workgroup_size: 32
    .name:           _Z14sort_keys_fullILj32ELj32ELj1ELb0E12hip_bfloat16N10test_utils4lessEEvPT3_T4_
    .private_segment_fixed_size: 0
    .sgpr_count:     8
    .sgpr_spill_count: 0
    .symbol:         _Z14sort_keys_fullILj32ELj32ELj1ELb0E12hip_bfloat16N10test_utils4lessEEvPT3_T4_.kd
    .uniform_work_group_size: 1
    .uses_dynamic_stack: false
    .vgpr_count:     15
    .vgpr_spill_count: 0
    .wavefront_size: 32
  - .args:
      - .address_space:  global
        .offset:         0
        .size:           8
        .value_kind:     global_buffer
      - .offset:         8
        .size:           1
        .value_kind:     by_value
    .group_segment_fixed_size: 66
    .kernarg_segment_align: 8
    .kernarg_segment_size: 12
    .language:       OpenCL C
    .language_version:
      - 2
      - 0
    .max_flat_workgroup_size: 32
    .name:           _Z14sort_keys_fullILj32ELj32ELj1ELb0E6__halfN10test_utils4lessEEvPT3_T4_
    .private_segment_fixed_size: 0
    .sgpr_count:     8
    .sgpr_spill_count: 0
    .symbol:         _Z14sort_keys_fullILj32ELj32ELj1ELb0E6__halfN10test_utils4lessEEvPT3_T4_.kd
    .uniform_work_group_size: 1
    .uses_dynamic_stack: false
    .vgpr_count:     15
    .vgpr_spill_count: 0
    .wavefront_size: 32
  - .args:
      - .address_space:  global
        .offset:         0
        .size:           8
        .value_kind:     global_buffer
      - .offset:         8
        .size:           1
        .value_kind:     by_value
    .group_segment_fixed_size: 1040
    .kernarg_segment_align: 8
    .kernarg_segment_size: 12
    .language:       OpenCL C
    .language_version:
      - 2
      - 0
    .max_flat_workgroup_size: 512
    .name:           _Z14sort_keys_fullILj512ELj64ELj1ELb0EsN10test_utils4lessEEvPT3_T4_
    .private_segment_fixed_size: 0
    .sgpr_count:     8
    .sgpr_spill_count: 0
    .symbol:         _Z14sort_keys_fullILj512ELj64ELj1ELb0EsN10test_utils4lessEEvPT3_T4_.kd
    .uniform_work_group_size: 1
    .uses_dynamic_stack: false
    .vgpr_count:     18
    .vgpr_spill_count: 0
    .wavefront_size: 32
  - .args:
      - .address_space:  global
        .offset:         0
        .size:           8
        .value_kind:     global_buffer
      - .offset:         8
        .size:           1
        .value_kind:     by_value
    .group_segment_fixed_size: 264
    .kernarg_segment_align: 8
    .kernarg_segment_size: 12
    .language:       OpenCL C
    .language_version:
      - 2
      - 0
    .max_flat_workgroup_size: 32
    .name:           _Z14sort_keys_fullILj32ELj32ELj1ELb0EdN10test_utils4lessEEvPT3_T4_
    .private_segment_fixed_size: 0
    .sgpr_count:     8
    .sgpr_spill_count: 0
    .symbol:         _Z14sort_keys_fullILj32ELj32ELj1ELb0EdN10test_utils4lessEEvPT3_T4_.kd
    .uniform_work_group_size: 1
    .uses_dynamic_stack: false
    .vgpr_count:     16
    .vgpr_spill_count: 0
    .wavefront_size: 32
  - .args:
      - .address_space:  global
        .offset:         0
        .size:           8
        .value_kind:     global_buffer
      - .offset:         8
        .size:           1
        .value_kind:     by_value
    .group_segment_fixed_size: 272
    .kernarg_segment_align: 8
    .kernarg_segment_size: 12
    .language:       OpenCL C
    .language_version:
      - 2
      - 0
    .max_flat_workgroup_size: 64
    .name:           _Z14sort_keys_fullILj64ELj16ELj1ELb0EfN10test_utils4lessEEvPT3_T4_
    .private_segment_fixed_size: 0
    .sgpr_count:     8
    .sgpr_spill_count: 0
    .symbol:         _Z14sort_keys_fullILj64ELj16ELj1ELb0EfN10test_utils4lessEEvPT3_T4_.kd
    .uniform_work_group_size: 1
    .uses_dynamic_stack: false
    .vgpr_count:     17
    .vgpr_spill_count: 0
    .wavefront_size: 32
  - .args:
      - .address_space:  global
        .offset:         0
        .size:           8
        .value_kind:     global_buffer
      - .offset:         8
        .size:           1
        .value_kind:     by_value
    .group_segment_fixed_size: 1536
    .kernarg_segment_align: 8
    .kernarg_segment_size: 12
    .language:       OpenCL C
    .language_version:
      - 2
      - 0
    .max_flat_workgroup_size: 256
    .name:           _Z14sort_keys_fullILj256ELj2ELj1ELb0EjN10test_utils4lessEEvPT3_T4_
    .private_segment_fixed_size: 0
    .sgpr_count:     8
    .sgpr_spill_count: 0
    .symbol:         _Z14sort_keys_fullILj256ELj2ELj1ELb0EjN10test_utils4lessEEvPT3_T4_.kd
    .uniform_work_group_size: 1
    .uses_dynamic_stack: false
    .vgpr_count:     10
    .vgpr_spill_count: 0
    .wavefront_size: 32
  - .args:
      - .address_space:  global
        .offset:         0
        .size:           8
        .value_kind:     global_buffer
      - .address_space:  global
        .offset:         8
        .size:           8
        .value_kind:     global_buffer
      - .offset:         16
        .size:           1
        .value_kind:     by_value
    .group_segment_fixed_size: 7200
    .kernarg_segment_align: 8
    .kernarg_segment_size: 20
    .language:       OpenCL C
    .language_version:
      - 2
      - 0
    .max_flat_workgroup_size: 256
    .name:           _Z21sort_keys_values_fullILj256ELj32ELj7ELb0EiN10test_utils16custom_test_typeIsEENS0_7greaterEEvPT3_PT4_T5_
    .private_segment_fixed_size: 0
    .sgpr_count:     18
    .sgpr_spill_count: 0
    .symbol:         _Z21sort_keys_values_fullILj256ELj32ELj7ELb0EiN10test_utils16custom_test_typeIsEENS0_7greaterEEvPT3_PT4_T5_.kd
    .uniform_work_group_size: 1
    .uses_dynamic_stack: false
    .vgpr_count:     50
    .vgpr_spill_count: 0
    .wavefront_size: 32
  - .args:
      - .address_space:  global
        .offset:         0
        .size:           8
        .value_kind:     global_buffer
      - .address_space:  global
        .offset:         8
        .size:           8
        .value_kind:     global_buffer
      - .offset:         16
        .size:           1
        .value_kind:     by_value
    .group_segment_fixed_size: 8448
    .kernarg_segment_align: 8
    .kernarg_segment_size: 20
    .language:       OpenCL C
    .language_version:
      - 2
      - 0
    .max_flat_workgroup_size: 256
    .name:           _Z21sort_keys_values_fullILj256ELj8ELj4ELb1ExsN10test_utils4lessEEvPT3_PT4_T5_
    .private_segment_fixed_size: 0
    .sgpr_count:     10
    .sgpr_spill_count: 0
    .symbol:         _Z21sort_keys_values_fullILj256ELj8ELj4ELb1ExsN10test_utils4lessEEvPT3_PT4_T5_.kd
    .uniform_work_group_size: 1
    .uses_dynamic_stack: false
    .vgpr_count:     54
    .vgpr_spill_count: 0
    .wavefront_size: 32
  - .args:
      - .address_space:  global
        .offset:         0
        .size:           8
        .value_kind:     global_buffer
      - .address_space:  global
        .offset:         8
        .size:           8
        .value_kind:     global_buffer
      - .offset:         16
        .size:           1
        .value_kind:     by_value
    .group_segment_fixed_size: 16448
    .kernarg_segment_align: 8
    .kernarg_segment_size: 20
    .language:       OpenCL C
    .language_version:
      - 2
      - 0
    .max_flat_workgroup_size: 256
    .name:           _Z21sort_keys_values_fullILj256ELj32ELj8ELb0EN10test_utils16custom_test_typeIfEEiNS0_4lessEEvPT3_PT4_T5_
    .private_segment_fixed_size: 0
    .sgpr_count:     16
    .sgpr_spill_count: 0
    .symbol:         _Z21sort_keys_values_fullILj256ELj32ELj8ELb0EN10test_utils16custom_test_typeIfEEiNS0_4lessEEvPT3_PT4_T5_.kd
    .uniform_work_group_size: 1
    .uses_dynamic_stack: false
    .vgpr_count:     66
    .vgpr_spill_count: 0
    .wavefront_size: 32
  - .args:
      - .address_space:  global
        .offset:         0
        .size:           8
        .value_kind:     global_buffer
      - .address_space:  global
        .offset:         8
        .size:           8
        .value_kind:     global_buffer
      - .offset:         16
        .size:           1
        .value_kind:     by_value
    .group_segment_fixed_size: 8256
    .kernarg_segment_align: 8
    .kernarg_segment_size: 20
    .language:       OpenCL C
    .language_version:
      - 2
      - 0
    .max_flat_workgroup_size: 256
    .name:           _Z21sort_keys_values_fullILj256ELj32ELj4ELb0EN10test_utils16custom_test_typeIfEEiNS0_4lessEEvPT3_PT4_T5_
    .private_segment_fixed_size: 0
    .sgpr_count:     18
    .sgpr_spill_count: 0
    .symbol:         _Z21sort_keys_values_fullILj256ELj32ELj4ELb0EN10test_utils16custom_test_typeIfEEiNS0_4lessEEvPT3_PT4_T5_.kd
    .uniform_work_group_size: 1
    .uses_dynamic_stack: false
    .vgpr_count:     38
    .vgpr_spill_count: 0
    .wavefront_size: 32
  - .args:
      - .address_space:  global
        .offset:         0
        .size:           8
        .value_kind:     global_buffer
      - .address_space:  global
        .offset:         8
        .size:           8
        .value_kind:     global_buffer
      - .offset:         16
        .size:           1
        .value_kind:     by_value
    .group_segment_fixed_size: 4160
    .kernarg_segment_align: 8
    .kernarg_segment_size: 20
    .language:       OpenCL C
    .language_version:
      - 2
      - 0
    .max_flat_workgroup_size: 256
    .name:           _Z21sort_keys_values_fullILj256ELj32ELj2ELb0EN10test_utils16custom_test_typeIfEEyNS0_4lessEEvPT3_PT4_T5_
    .private_segment_fixed_size: 0
    .sgpr_count:     14
    .sgpr_spill_count: 0
    .symbol:         _Z21sort_keys_values_fullILj256ELj32ELj2ELb0EN10test_utils16custom_test_typeIfEEyNS0_4lessEEvPT3_PT4_T5_.kd
    .uniform_work_group_size: 1
    .uses_dynamic_stack: false
    .vgpr_count:     28
    .vgpr_spill_count: 0
    .wavefront_size: 32
  - .args:
      - .address_space:  global
        .offset:         0
        .size:           8
        .value_kind:     global_buffer
      - .address_space:  global
        .offset:         8
        .size:           8
        .value_kind:     global_buffer
      - .offset:         16
        .size:           1
        .value_kind:     by_value
    .group_segment_fixed_size: 132
    .kernarg_segment_align: 8
    .kernarg_segment_size: 20
    .language:       OpenCL C
    .language_version:
      - 2
      - 0
    .max_flat_workgroup_size: 32
    .name:           _Z21sort_keys_values_fullILj32ELj32ELj1ELb0E12hip_bfloat16iN10test_utils4lessEEvPT3_PT4_T5_
    .private_segment_fixed_size: 0
    .sgpr_count:     10
    .sgpr_spill_count: 0
    .symbol:         _Z21sort_keys_values_fullILj32ELj32ELj1ELb0E12hip_bfloat16iN10test_utils4lessEEvPT3_PT4_T5_.kd
    .uniform_work_group_size: 1
    .uses_dynamic_stack: false
    .vgpr_count:     19
    .vgpr_spill_count: 0
    .wavefront_size: 32
  - .args:
      - .address_space:  global
        .offset:         0
        .size:           8
        .value_kind:     global_buffer
      - .address_space:  global
        .offset:         8
        .size:           8
        .value_kind:     global_buffer
      - .offset:         16
        .size:           1
        .value_kind:     by_value
    .group_segment_fixed_size: 132
    .kernarg_segment_align: 8
    .kernarg_segment_size: 20
    .language:       OpenCL C
    .language_version:
      - 2
      - 0
    .max_flat_workgroup_size: 32
    .name:           _Z21sort_keys_values_fullILj32ELj32ELj1ELb0E6__halfiN10test_utils4lessEEvPT3_PT4_T5_
    .private_segment_fixed_size: 0
    .sgpr_count:     10
    .sgpr_spill_count: 0
    .symbol:         _Z21sort_keys_values_fullILj32ELj32ELj1ELb0E6__halfiN10test_utils4lessEEvPT3_PT4_T5_.kd
    .uniform_work_group_size: 1
    .uses_dynamic_stack: false
    .vgpr_count:     19
    .vgpr_spill_count: 0
    .wavefront_size: 32
  - .args:
      - .address_space:  global
        .offset:         0
        .size:           8
        .value_kind:     global_buffer
      - .address_space:  global
        .offset:         8
        .size:           8
        .value_kind:     global_buffer
      - .offset:         16
        .size:           1
        .value_kind:     by_value
    .group_segment_fixed_size: 2080
    .kernarg_segment_align: 8
    .kernarg_segment_size: 20
    .language:       OpenCL C
    .language_version:
      - 2
      - 0
    .max_flat_workgroup_size: 512
    .name:           _Z21sort_keys_values_fullILj512ELj64ELj1ELb0EsiN10test_utils4lessEEvPT3_PT4_T5_
    .private_segment_fixed_size: 0
    .sgpr_count:     10
    .sgpr_spill_count: 0
    .symbol:         _Z21sort_keys_values_fullILj512ELj64ELj1ELb0EsiN10test_utils4lessEEvPT3_PT4_T5_.kd
    .uniform_work_group_size: 1
    .uses_dynamic_stack: false
    .vgpr_count:     22
    .vgpr_spill_count: 0
    .wavefront_size: 32
  - .args:
      - .address_space:  global
        .offset:         0
        .size:           8
        .value_kind:     global_buffer
      - .address_space:  global
        .offset:         8
        .size:           8
        .value_kind:     global_buffer
      - .offset:         16
        .size:           1
        .value_kind:     by_value
    .group_segment_fixed_size: 264
    .kernarg_segment_align: 8
    .kernarg_segment_size: 20
    .language:       OpenCL C
    .language_version:
      - 2
      - 0
    .max_flat_workgroup_size: 32
    .name:           _Z21sort_keys_values_fullILj32ELj32ELj1ELb0EdiN10test_utils4lessEEvPT3_PT4_T5_
    .private_segment_fixed_size: 0
    .sgpr_count:     10
    .sgpr_spill_count: 0
    .symbol:         _Z21sort_keys_values_fullILj32ELj32ELj1ELb0EdiN10test_utils4lessEEvPT3_PT4_T5_.kd
    .uniform_work_group_size: 1
    .uses_dynamic_stack: false
    .vgpr_count:     20
    .vgpr_spill_count: 0
    .wavefront_size: 32
  - .args:
      - .address_space:  global
        .offset:         0
        .size:           8
        .value_kind:     global_buffer
      - .address_space:  global
        .offset:         8
        .size:           8
        .value_kind:     global_buffer
      - .offset:         16
        .size:           1
        .value_kind:     by_value
    .group_segment_fixed_size: 272
    .kernarg_segment_align: 8
    .kernarg_segment_size: 20
    .language:       OpenCL C
    .language_version:
      - 2
      - 0
    .max_flat_workgroup_size: 64
    .name:           _Z21sort_keys_values_fullILj64ELj16ELj1ELb0EfcN10test_utils4lessEEvPT3_PT4_T5_
    .private_segment_fixed_size: 0
    .sgpr_count:     10
    .sgpr_spill_count: 0
    .symbol:         _Z21sort_keys_values_fullILj64ELj16ELj1ELb0EfcN10test_utils4lessEEvPT3_PT4_T5_.kd
    .uniform_work_group_size: 1
    .uses_dynamic_stack: false
    .vgpr_count:     21
    .vgpr_spill_count: 0
    .wavefront_size: 32
  - .args:
      - .address_space:  global
        .offset:         0
        .size:           8
        .value_kind:     global_buffer
      - .address_space:  global
        .offset:         8
        .size:           8
        .value_kind:     global_buffer
      - .offset:         16
        .size:           1
        .value_kind:     by_value
    .group_segment_fixed_size: 1536
    .kernarg_segment_align: 8
    .kernarg_segment_size: 20
    .language:       OpenCL C
    .language_version:
      - 2
      - 0
    .max_flat_workgroup_size: 256
    .name:           _Z21sort_keys_values_fullILj256ELj2ELj1ELb0EjiN10test_utils4lessEEvPT3_PT4_T5_
    .private_segment_fixed_size: 0
    .sgpr_count:     12
    .sgpr_spill_count: 0
    .symbol:         _Z21sort_keys_values_fullILj256ELj2ELj1ELb0EjiN10test_utils4lessEEvPT3_PT4_T5_.kd
    .uniform_work_group_size: 1
    .uses_dynamic_stack: false
    .vgpr_count:     12
    .vgpr_spill_count: 0
    .wavefront_size: 32
amdhsa.target:   amdgcn-amd-amdhsa--gfx1250
amdhsa.version:
  - 1
  - 2
...

	.end_amdgpu_metadata
